;; amdgpu-corpus repo=ROCm/rocFFT kind=compiled arch=gfx950 opt=O3
	.text
	.amdgcn_target "amdgcn-amd-amdhsa--gfx950"
	.amdhsa_code_object_version 6
	.protected	fft_rtc_back_len1377_factors_17_3_9_3_wgs_51_tpt_51_halfLds_dp_op_CI_CI_sbrr_dirReg ; -- Begin function fft_rtc_back_len1377_factors_17_3_9_3_wgs_51_tpt_51_halfLds_dp_op_CI_CI_sbrr_dirReg
	.globl	fft_rtc_back_len1377_factors_17_3_9_3_wgs_51_tpt_51_halfLds_dp_op_CI_CI_sbrr_dirReg
	.p2align	8
	.type	fft_rtc_back_len1377_factors_17_3_9_3_wgs_51_tpt_51_halfLds_dp_op_CI_CI_sbrr_dirReg,@function
fft_rtc_back_len1377_factors_17_3_9_3_wgs_51_tpt_51_halfLds_dp_op_CI_CI_sbrr_dirReg: ; @fft_rtc_back_len1377_factors_17_3_9_3_wgs_51_tpt_51_halfLds_dp_op_CI_CI_sbrr_dirReg
; %bb.0:
	s_load_dwordx4 s[12:15], s[0:1], 0x18
	s_load_dwordx4 s[8:11], s[0:1], 0x0
	;; [unrolled: 1-line block ×3, first 2 shown]
	v_mul_u32_u24_e32 v1, 0x506, v0
	v_add_u32_sdwa v6, s2, v1 dst_sel:DWORD dst_unused:UNUSED_PAD src0_sel:DWORD src1_sel:WORD_1
	s_waitcnt lgkmcnt(0)
	s_load_dwordx2 s[18:19], s[12:13], 0x0
	s_load_dwordx2 s[16:17], s[14:15], 0x0
	v_mov_b32_e32 v2, 0
	v_cmp_lt_u64_e64 s[2:3], s[10:11], 2
	v_mov_b32_e32 v7, v2
	s_and_b64 vcc, exec, s[2:3]
	v_mov_b64_e32 v[4:5], 0
	s_cbranch_vccnz .LBB0_8
; %bb.1:
	s_load_dwordx2 s[2:3], s[0:1], 0x10
	s_add_u32 s20, s14, 8
	s_addc_u32 s21, s15, 0
	s_add_u32 s22, s12, 8
	s_addc_u32 s23, s13, 0
	s_waitcnt lgkmcnt(0)
	s_add_u32 s24, s2, 8
	v_mov_b64_e32 v[4:5], 0
	s_addc_u32 s25, s3, 0
	s_mov_b64 s[26:27], 1
	v_mov_b64_e32 v[136:137], v[4:5]
.LBB0_2:                                ; =>This Inner Loop Header: Depth=1
	s_load_dwordx2 s[28:29], s[24:25], 0x0
                                        ; implicit-def: $vgpr138_vgpr139
	s_waitcnt lgkmcnt(0)
	v_or_b32_e32 v3, s29, v7
	v_cmp_ne_u64_e32 vcc, 0, v[2:3]
	s_and_saveexec_b64 s[2:3], vcc
	s_xor_b64 s[30:31], exec, s[2:3]
	s_cbranch_execz .LBB0_4
; %bb.3:                                ;   in Loop: Header=BB0_2 Depth=1
	v_cvt_f32_u32_e32 v1, s28
	v_cvt_f32_u32_e32 v3, s29
	s_sub_u32 s2, 0, s28
	s_subb_u32 s3, 0, s29
	v_fmac_f32_e32 v1, 0x4f800000, v3
	v_rcp_f32_e32 v1, v1
	s_nop 0
	v_mul_f32_e32 v1, 0x5f7ffffc, v1
	v_mul_f32_e32 v3, 0x2f800000, v1
	v_trunc_f32_e32 v3, v3
	v_fmac_f32_e32 v1, 0xcf800000, v3
	v_cvt_u32_f32_e32 v3, v3
	v_cvt_u32_f32_e32 v1, v1
	v_mul_lo_u32 v8, s2, v3
	v_mul_hi_u32 v10, s2, v1
	v_mul_lo_u32 v9, s3, v1
	v_add_u32_e32 v10, v10, v8
	v_mul_lo_u32 v12, s2, v1
	v_add_u32_e32 v13, v10, v9
	v_mul_hi_u32 v8, v1, v12
	v_mul_hi_u32 v11, v1, v13
	v_mul_lo_u32 v10, v1, v13
	v_mov_b32_e32 v9, v2
	v_lshl_add_u64 v[8:9], v[8:9], 0, v[10:11]
	v_mul_hi_u32 v11, v3, v12
	v_mul_lo_u32 v12, v3, v12
	v_add_co_u32_e32 v8, vcc, v8, v12
	v_mul_hi_u32 v10, v3, v13
	s_nop 0
	v_addc_co_u32_e32 v8, vcc, v9, v11, vcc
	v_mov_b32_e32 v9, v2
	s_nop 0
	v_addc_co_u32_e32 v11, vcc, 0, v10, vcc
	v_mul_lo_u32 v10, v3, v13
	v_lshl_add_u64 v[8:9], v[8:9], 0, v[10:11]
	v_add_co_u32_e32 v1, vcc, v1, v8
	v_mul_lo_u32 v10, s2, v1
	s_nop 0
	v_addc_co_u32_e32 v3, vcc, v3, v9, vcc
	v_mul_lo_u32 v8, s2, v3
	v_mul_hi_u32 v9, s2, v1
	v_add_u32_e32 v8, v9, v8
	v_mul_lo_u32 v9, s3, v1
	v_add_u32_e32 v12, v8, v9
	v_mul_hi_u32 v14, v3, v10
	v_mul_lo_u32 v15, v3, v10
	v_mul_hi_u32 v9, v1, v12
	v_mul_lo_u32 v8, v1, v12
	v_mul_hi_u32 v10, v1, v10
	v_mov_b32_e32 v11, v2
	v_lshl_add_u64 v[8:9], v[10:11], 0, v[8:9]
	v_add_co_u32_e32 v8, vcc, v8, v15
	v_mul_hi_u32 v13, v3, v12
	s_nop 0
	v_addc_co_u32_e32 v8, vcc, v9, v14, vcc
	v_mul_lo_u32 v10, v3, v12
	s_nop 0
	v_addc_co_u32_e32 v11, vcc, 0, v13, vcc
	v_mov_b32_e32 v9, v2
	v_lshl_add_u64 v[8:9], v[8:9], 0, v[10:11]
	v_add_co_u32_e32 v1, vcc, v1, v8
	v_mul_hi_u32 v10, v6, v1
	s_nop 0
	v_addc_co_u32_e32 v3, vcc, v3, v9, vcc
	v_mad_u64_u32 v[8:9], s[2:3], v6, v3, 0
	v_mov_b32_e32 v11, v2
	v_lshl_add_u64 v[8:9], v[10:11], 0, v[8:9]
	v_mad_u64_u32 v[12:13], s[2:3], v7, v1, 0
	v_add_co_u32_e32 v1, vcc, v8, v12
	v_mad_u64_u32 v[10:11], s[2:3], v7, v3, 0
	s_nop 0
	v_addc_co_u32_e32 v8, vcc, v9, v13, vcc
	v_mov_b32_e32 v9, v2
	s_nop 0
	v_addc_co_u32_e32 v11, vcc, 0, v11, vcc
	v_lshl_add_u64 v[8:9], v[8:9], 0, v[10:11]
	v_mul_lo_u32 v1, s29, v8
	v_mul_lo_u32 v3, s28, v9
	v_mad_u64_u32 v[10:11], s[2:3], s28, v8, 0
	v_add3_u32 v1, v11, v3, v1
	v_sub_u32_e32 v3, v7, v1
	v_mov_b32_e32 v11, s29
	v_sub_co_u32_e32 v14, vcc, v6, v10
	v_lshl_add_u64 v[12:13], v[8:9], 0, 1
	s_nop 0
	v_subb_co_u32_e64 v3, s[2:3], v3, v11, vcc
	v_subrev_co_u32_e64 v10, s[2:3], s28, v14
	v_subb_co_u32_e32 v1, vcc, v7, v1, vcc
	s_nop 0
	v_subbrev_co_u32_e64 v3, s[2:3], 0, v3, s[2:3]
	v_cmp_le_u32_e64 s[2:3], s29, v3
	v_cmp_le_u32_e32 vcc, s29, v1
	s_nop 0
	v_cndmask_b32_e64 v11, 0, -1, s[2:3]
	v_cmp_le_u32_e64 s[2:3], s28, v10
	s_nop 1
	v_cndmask_b32_e64 v10, 0, -1, s[2:3]
	v_cmp_eq_u32_e64 s[2:3], s29, v3
	s_nop 1
	v_cndmask_b32_e64 v3, v11, v10, s[2:3]
	v_lshl_add_u64 v[10:11], v[8:9], 0, 2
	v_cmp_ne_u32_e64 s[2:3], 0, v3
	s_nop 1
	v_cndmask_b32_e64 v3, v13, v11, s[2:3]
	v_cndmask_b32_e64 v11, 0, -1, vcc
	v_cmp_le_u32_e32 vcc, s28, v14
	s_nop 1
	v_cndmask_b32_e64 v13, 0, -1, vcc
	v_cmp_eq_u32_e32 vcc, s29, v1
	s_nop 1
	v_cndmask_b32_e32 v1, v11, v13, vcc
	v_cmp_ne_u32_e32 vcc, 0, v1
	v_cndmask_b32_e64 v1, v12, v10, s[2:3]
	s_nop 0
	v_cndmask_b32_e32 v139, v9, v3, vcc
	v_cndmask_b32_e32 v138, v8, v1, vcc
.LBB0_4:                                ;   in Loop: Header=BB0_2 Depth=1
	s_andn2_saveexec_b64 s[2:3], s[30:31]
	s_cbranch_execz .LBB0_6
; %bb.5:                                ;   in Loop: Header=BB0_2 Depth=1
	v_cvt_f32_u32_e32 v1, s28
	s_sub_i32 s30, 0, s28
	v_mov_b32_e32 v139, v2
	v_rcp_iflag_f32_e32 v1, v1
	s_nop 0
	v_mul_f32_e32 v1, 0x4f7ffffe, v1
	v_cvt_u32_f32_e32 v1, v1
	v_mul_lo_u32 v3, s30, v1
	v_mul_hi_u32 v3, v1, v3
	v_add_u32_e32 v1, v1, v3
	v_mul_hi_u32 v1, v6, v1
	v_mul_lo_u32 v3, v1, s28
	v_sub_u32_e32 v3, v6, v3
	v_add_u32_e32 v8, 1, v1
	v_subrev_u32_e32 v9, s28, v3
	v_cmp_le_u32_e32 vcc, s28, v3
	s_nop 1
	v_cndmask_b32_e32 v3, v3, v9, vcc
	v_cndmask_b32_e32 v1, v1, v8, vcc
	v_add_u32_e32 v8, 1, v1
	v_cmp_le_u32_e32 vcc, s28, v3
	s_nop 1
	v_cndmask_b32_e32 v138, v1, v8, vcc
.LBB0_6:                                ;   in Loop: Header=BB0_2 Depth=1
	s_or_b64 exec, exec, s[2:3]
	v_mad_u64_u32 v[8:9], s[2:3], v138, s28, 0
	s_load_dwordx2 s[2:3], s[22:23], 0x0
	v_mul_lo_u32 v1, v139, s28
	v_mul_lo_u32 v3, v138, s29
	s_load_dwordx2 s[28:29], s[20:21], 0x0
	s_add_u32 s26, s26, 1
	v_add3_u32 v1, v9, v3, v1
	v_sub_co_u32_e32 v3, vcc, v6, v8
	s_addc_u32 s27, s27, 0
	s_nop 0
	v_subb_co_u32_e32 v1, vcc, v7, v1, vcc
	s_add_u32 s20, s20, 8
	s_waitcnt lgkmcnt(0)
	v_mul_lo_u32 v6, s2, v1
	v_mul_lo_u32 v7, s3, v3
	v_mad_u64_u32 v[4:5], s[2:3], s2, v3, v[4:5]
	s_addc_u32 s21, s21, 0
	v_add3_u32 v5, v7, v5, v6
	v_mul_lo_u32 v1, s28, v1
	v_mul_lo_u32 v6, s29, v3
	v_mad_u64_u32 v[136:137], s[2:3], s28, v3, v[136:137]
	s_add_u32 s22, s22, 8
	v_add3_u32 v137, v6, v137, v1
	s_addc_u32 s23, s23, 0
	v_mov_b64_e32 v[6:7], s[10:11]
	s_add_u32 s24, s24, 8
	v_cmp_ge_u64_e32 vcc, s[26:27], v[6:7]
	s_addc_u32 s25, s25, 0
	s_cbranch_vccnz .LBB0_9
; %bb.7:                                ;   in Loop: Header=BB0_2 Depth=1
	v_mov_b64_e32 v[6:7], v[138:139]
	s_branch .LBB0_2
.LBB0_8:
	v_mov_b64_e32 v[136:137], v[4:5]
	v_mov_b64_e32 v[138:139], v[6:7]
.LBB0_9:
	s_load_dwordx2 s[0:1], s[0:1], 0x28
	s_lshl_b64 s[20:21], s[10:11], 3
	s_add_u32 s2, s14, s20
	s_addc_u32 s3, s15, s21
                                        ; implicit-def: $vgpr184
	s_waitcnt lgkmcnt(0)
	v_cmp_gt_u64_e32 vcc, s[0:1], v[138:139]
	v_cmp_le_u64_e64 s[0:1], s[0:1], v[138:139]
	s_and_saveexec_b64 s[10:11], s[0:1]
	s_xor_b64 s[0:1], exec, s[10:11]
; %bb.10:
	s_mov_b32 s10, 0x5050506
	v_mul_hi_u32 v1, v0, s10
	v_mul_u32_u24_e32 v1, 51, v1
	v_sub_u32_e32 v184, v0, v1
                                        ; implicit-def: $vgpr0
                                        ; implicit-def: $vgpr4_vgpr5
; %bb.11:
	s_or_saveexec_b64 s[10:11], s[0:1]
	s_load_dwordx2 s[2:3], s[2:3], 0x0
                                        ; implicit-def: $vgpr114_vgpr115
                                        ; implicit-def: $vgpr82_vgpr83
                                        ; implicit-def: $vgpr70_vgpr71
                                        ; implicit-def: $vgpr50_vgpr51
                                        ; implicit-def: $vgpr46_vgpr47
                                        ; implicit-def: $vgpr34_vgpr35
                                        ; implicit-def: $vgpr22_vgpr23
                                        ; implicit-def: $vgpr6_vgpr7
                                        ; implicit-def: $vgpr2_vgpr3
                                        ; implicit-def: $vgpr10_vgpr11
                                        ; implicit-def: $vgpr14_vgpr15
                                        ; implicit-def: $vgpr18_vgpr19
                                        ; implicit-def: $vgpr26_vgpr27
                                        ; implicit-def: $vgpr30_vgpr31
                                        ; implicit-def: $vgpr42_vgpr43
                                        ; implicit-def: $vgpr54_vgpr55
                                        ; implicit-def: $vgpr38_vgpr39
                                        ; implicit-def: $vgpr134_vgpr135
                                        ; implicit-def: $vgpr130_vgpr131
                                        ; implicit-def: $vgpr126_vgpr127
                                        ; implicit-def: $vgpr122_vgpr123
                                        ; implicit-def: $vgpr102_vgpr103
                                        ; implicit-def: $vgpr90_vgpr91
                                        ; implicit-def: $vgpr78_vgpr79
                                        ; implicit-def: $vgpr62_vgpr63
                                        ; implicit-def: $vgpr58_vgpr59
                                        ; implicit-def: $vgpr66_vgpr67
                                        ; implicit-def: $vgpr74_vgpr75
                                        ; implicit-def: $vgpr86_vgpr87
                                        ; implicit-def: $vgpr94_vgpr95
                                        ; implicit-def: $vgpr98_vgpr99
                                        ; implicit-def: $vgpr110_vgpr111
                                        ; implicit-def: $vgpr118_vgpr119
                                        ; implicit-def: $vgpr106_vgpr107
	s_xor_b64 exec, exec, s[10:11]
	s_cbranch_execz .LBB0_15
; %bb.12:
	s_add_u32 s0, s12, s20
	s_addc_u32 s1, s13, s21
	s_load_dwordx2 s[0:1], s[0:1], 0x0
	s_mov_b32 s12, 0x5050506
                                        ; implicit-def: $vgpr36_vgpr37
                                        ; implicit-def: $vgpr52_vgpr53
                                        ; implicit-def: $vgpr40_vgpr41
                                        ; implicit-def: $vgpr28_vgpr29
                                        ; implicit-def: $vgpr24_vgpr25
                                        ; implicit-def: $vgpr16_vgpr17
                                        ; implicit-def: $vgpr12_vgpr13
                                        ; implicit-def: $vgpr8_vgpr9
                                        ; implicit-def: $vgpr20_vgpr21
                                        ; implicit-def: $vgpr32_vgpr33
                                        ; implicit-def: $vgpr44_vgpr45
                                        ; implicit-def: $vgpr48_vgpr49
                                        ; implicit-def: $vgpr68_vgpr69
                                        ; implicit-def: $vgpr80_vgpr81
                                        ; implicit-def: $vgpr112_vgpr113
	s_waitcnt lgkmcnt(0)
	v_mul_lo_u32 v1, s1, v138
	v_mul_lo_u32 v6, s0, v139
	v_mad_u64_u32 v[2:3], s[0:1], s0, v138, 0
	v_add3_u32 v3, v3, v6, v1
	v_mul_hi_u32 v1, v0, s12
	v_mul_u32_u24_e32 v1, 51, v1
	v_sub_u32_e32 v184, v0, v1
	v_lshl_add_u64 v[2:3], v[2:3], 4, s[4:5]
	v_lshl_add_u64 v[114:115], v[4:5], 4, v[2:3]
	v_add_u32_e32 v5, 0x51, v184
	v_mad_u64_u32 v[0:1], s[0:1], s18, v184, 0
	v_mad_u64_u32 v[2:3], s[0:1], s18, v5, 0
	v_mov_b32_e32 v6, v1
	v_mov_b32_e32 v4, v3
	v_mad_u64_u32 v[6:7], s[0:1], s19, v184, v[6:7]
	v_mad_u64_u32 v[4:5], s[0:1], s19, v5, v[4:5]
	v_mov_b32_e32 v1, v6
	v_mov_b32_e32 v3, v4
	v_lshl_add_u64 v[0:1], v[0:1], 4, v[114:115]
	v_lshl_add_u64 v[2:3], v[2:3], 4, v[114:115]
	global_load_dwordx4 v[104:107], v[0:1], off
	global_load_dwordx4 v[116:119], v[2:3], off
	v_add_u32_e32 v3, 0xa2, v184
	v_mad_u64_u32 v[0:1], s[0:1], s18, v3, 0
	v_mov_b32_e32 v2, v1
	v_mad_u64_u32 v[2:3], s[0:1], s19, v3, v[2:3]
	v_add_u32_e32 v5, 0xf3, v184
	v_mov_b32_e32 v1, v2
	v_mad_u64_u32 v[2:3], s[0:1], s18, v5, 0
	v_mov_b32_e32 v4, v3
	v_mad_u64_u32 v[4:5], s[0:1], s19, v5, v[4:5]
	v_mov_b32_e32 v3, v4
	v_lshl_add_u64 v[0:1], v[0:1], 4, v[114:115]
	v_lshl_add_u64 v[2:3], v[2:3], 4, v[114:115]
	global_load_dwordx4 v[108:111], v[0:1], off
	global_load_dwordx4 v[96:99], v[2:3], off
	v_add_u32_e32 v3, 0x144, v184
	v_mad_u64_u32 v[0:1], s[0:1], s18, v3, 0
	v_mov_b32_e32 v2, v1
	v_mad_u64_u32 v[2:3], s[0:1], s19, v3, v[2:3]
	v_add_u32_e32 v5, 0x195, v184
	v_mov_b32_e32 v1, v2
	v_mad_u64_u32 v[2:3], s[0:1], s18, v5, 0
	v_mov_b32_e32 v4, v3
	v_mad_u64_u32 v[4:5], s[0:1], s19, v5, v[4:5]
	;; [unrolled: 14-line block ×7, first 2 shown]
	v_mov_b32_e32 v3, v4
	v_lshl_add_u64 v[0:1], v[0:1], 4, v[114:115]
	v_lshl_add_u64 v[2:3], v[2:3], 4, v[114:115]
	global_load_dwordx4 v[124:127], v[0:1], off
	global_load_dwordx4 v[128:131], v[2:3], off
	v_add_u32_e32 v3, 0x510, v184
	v_mad_u64_u32 v[0:1], s[0:1], s18, v3, 0
	v_mov_b32_e32 v2, v1
	v_mad_u64_u32 v[2:3], s[0:1], s19, v3, v[2:3]
	v_mov_b32_e32 v1, v2
	v_lshl_add_u64 v[0:1], v[0:1], 4, v[114:115]
	global_load_dwordx4 v[132:135], v[0:1], off
	v_cmp_gt_u32_e64 s[0:1], 30, v184
                                        ; implicit-def: $vgpr0_vgpr1
                                        ; implicit-def: $vgpr4_vgpr5
	s_and_saveexec_b64 s[4:5], s[0:1]
	s_cbranch_execz .LBB0_14
; %bb.13:
	v_add_u32_e32 v3, 51, v184
	v_mad_u64_u32 v[0:1], s[0:1], s18, v3, 0
	v_mov_b32_e32 v2, v1
	v_mad_u64_u32 v[2:3], s[0:1], s19, v3, v[2:3]
	v_add_u32_e32 v5, 0x84, v184
	v_mov_b32_e32 v1, v2
	v_mad_u64_u32 v[2:3], s[0:1], s18, v5, 0
	v_mov_b32_e32 v4, v3
	v_mad_u64_u32 v[4:5], s[0:1], s19, v5, v[4:5]
	v_mov_b32_e32 v3, v4
	v_lshl_add_u64 v[0:1], v[0:1], 4, v[114:115]
	v_lshl_add_u64 v[2:3], v[2:3], 4, v[114:115]
	global_load_dwordx4 v[36:39], v[0:1], off
	global_load_dwordx4 v[52:55], v[2:3], off
	v_add_u32_e32 v3, 0xd5, v184
	v_mad_u64_u32 v[0:1], s[0:1], s18, v3, 0
	v_mov_b32_e32 v2, v1
	v_mad_u64_u32 v[2:3], s[0:1], s19, v3, v[2:3]
	v_add_u32_e32 v5, 0x126, v184
	v_mov_b32_e32 v1, v2
	v_mad_u64_u32 v[2:3], s[0:1], s18, v5, 0
	v_mov_b32_e32 v4, v3
	v_mad_u64_u32 v[4:5], s[0:1], s19, v5, v[4:5]
	v_mov_b32_e32 v3, v4
	v_lshl_add_u64 v[0:1], v[0:1], 4, v[114:115]
	v_lshl_add_u64 v[2:3], v[2:3], 4, v[114:115]
	global_load_dwordx4 v[40:43], v[0:1], off
	global_load_dwordx4 v[28:31], v[2:3], off
	v_add_u32_e32 v3, 0x177, v184
	v_mad_u64_u32 v[0:1], s[0:1], s18, v3, 0
	v_mov_b32_e32 v2, v1
	v_mad_u64_u32 v[2:3], s[0:1], s19, v3, v[2:3]
	v_add_u32_e32 v5, 0x1c8, v184
	v_mov_b32_e32 v1, v2
	v_mad_u64_u32 v[2:3], s[0:1], s18, v5, 0
	v_mov_b32_e32 v4, v3
	v_mad_u64_u32 v[4:5], s[0:1], s19, v5, v[4:5]
	v_mov_b32_e32 v3, v4
	v_lshl_add_u64 v[0:1], v[0:1], 4, v[114:115]
	v_lshl_add_u64 v[2:3], v[2:3], 4, v[114:115]
	global_load_dwordx4 v[24:27], v[0:1], off
	global_load_dwordx4 v[16:19], v[2:3], off
	v_add_u32_e32 v3, 0x219, v184
	v_mad_u64_u32 v[0:1], s[0:1], s18, v3, 0
	v_mov_b32_e32 v2, v1
	v_mad_u64_u32 v[2:3], s[0:1], s19, v3, v[2:3]
	v_add_u32_e32 v5, 0x26a, v184
	v_mov_b32_e32 v1, v2
	v_mad_u64_u32 v[2:3], s[0:1], s18, v5, 0
	v_mov_b32_e32 v4, v3
	v_mad_u64_u32 v[4:5], s[0:1], s19, v5, v[4:5]
	v_mov_b32_e32 v3, v4
	v_lshl_add_u64 v[0:1], v[0:1], 4, v[114:115]
	v_lshl_add_u64 v[2:3], v[2:3], 4, v[114:115]
	global_load_dwordx4 v[12:15], v[0:1], off
	global_load_dwordx4 v[8:11], v[2:3], off
	v_add_u32_e32 v3, 0x2bb, v184
	v_mad_u64_u32 v[0:1], s[0:1], s18, v3, 0
	v_mov_b32_e32 v2, v1
	v_mad_u64_u32 v[2:3], s[0:1], s19, v3, v[2:3]
	v_mov_b32_e32 v1, v2
	v_add_u32_e32 v3, 0x30c, v184
	v_lshl_add_u64 v[20:21], v[0:1], 4, v[114:115]
	v_mad_u64_u32 v[0:1], s[0:1], s18, v3, 0
	v_mov_b32_e32 v2, v1
	v_mad_u64_u32 v[2:3], s[0:1], s19, v3, v[2:3]
	v_mov_b32_e32 v1, v2
	v_lshl_add_u64 v[22:23], v[0:1], 4, v[114:115]
	global_load_dwordx4 v[0:3], v[20:21], off
	global_load_dwordx4 v[4:7], v[22:23], off
	v_add_u32_e32 v23, 0x35d, v184
	v_mad_u64_u32 v[20:21], s[0:1], s18, v23, 0
	v_mov_b32_e32 v22, v21
	v_mad_u64_u32 v[22:23], s[0:1], s19, v23, v[22:23]
	v_mov_b32_e32 v21, v22
	v_add_u32_e32 v23, 0x3ae, v184
	v_lshl_add_u64 v[44:45], v[20:21], 4, v[114:115]
	v_mad_u64_u32 v[20:21], s[0:1], s18, v23, 0
	v_mov_b32_e32 v22, v21
	v_mad_u64_u32 v[22:23], s[0:1], s19, v23, v[22:23]
	v_mov_b32_e32 v21, v22
	v_lshl_add_u64 v[46:47], v[20:21], 4, v[114:115]
	global_load_dwordx4 v[20:23], v[44:45], off
	global_load_dwordx4 v[32:35], v[46:47], off
	v_add_u32_e32 v47, 0x3ff, v184
	v_add_u32_e32 v71, 0x4a1, v184
	v_mad_u64_u32 v[44:45], s[0:1], s18, v47, 0
	v_mad_u64_u32 v[68:69], s[0:1], s18, v71, 0
	v_mov_b32_e32 v46, v45
	v_mov_b32_e32 v70, v69
	v_mad_u64_u32 v[46:47], s[0:1], s19, v47, v[46:47]
	v_add_u32_e32 v49, 0x450, v184
	v_mad_u64_u32 v[70:71], s[0:1], s19, v71, v[70:71]
	v_add_u32_e32 v81, 0x4f2, v184
	v_add_u32_e32 v141, 0x543, v184
	v_mov_b32_e32 v45, v46
	v_mad_u64_u32 v[46:47], s[0:1], s18, v49, 0
	v_mov_b32_e32 v69, v70
	v_mad_u64_u32 v[70:71], s[0:1], s18, v81, 0
	v_mad_u64_u32 v[112:113], s[0:1], s18, v141, 0
	v_mov_b32_e32 v48, v47
	v_mov_b32_e32 v80, v71
	;; [unrolled: 1-line block ×3, first 2 shown]
	v_mad_u64_u32 v[48:49], s[0:1], s19, v49, v[48:49]
	v_mad_u64_u32 v[80:81], s[0:1], s19, v81, v[80:81]
	;; [unrolled: 1-line block ×3, first 2 shown]
	v_mov_b32_e32 v47, v48
	v_mov_b32_e32 v71, v80
	;; [unrolled: 1-line block ×3, first 2 shown]
	v_lshl_add_u64 v[44:45], v[44:45], 4, v[114:115]
	v_lshl_add_u64 v[48:49], v[46:47], 4, v[114:115]
	;; [unrolled: 1-line block ×5, first 2 shown]
	global_load_dwordx4 v[44:47], v[44:45], off
	s_nop 0
	global_load_dwordx4 v[48:51], v[48:49], off
	s_nop 0
	;; [unrolled: 2-line block ×4, first 2 shown]
	global_load_dwordx4 v[112:115], v[112:113], off
.LBB0_14:
	s_or_b64 exec, exec, s[4:5]
.LBB0_15:
	s_or_b64 exec, exec, s[10:11]
	s_mov_b32 s22, 0x5d8e7cdc
	s_mov_b32 s36, 0x2a9d6da3
	;; [unrolled: 1-line block ×8, first 2 shown]
	s_waitcnt vmcnt(0)
	v_add_f64 v[144:145], v[118:119], -v[134:135]
	s_mov_b32 s23, 0xbfd71e95
	s_mov_b32 s14, 0x370991
	s_mov_b32 s37, 0xbfe58eea
	s_mov_b32 s12, 0x75d4884
	s_mov_b32 s47, 0xbfeca52d
	s_mov_b32 s10, 0x2b2883cd
	s_mov_b32 s35, 0xbfefdd0d
	s_mov_b32 s4, 0x3259b75e
	s_mov_b32 s19, 0xbfeec746
	s_mov_b32 s20, 0xc61f0d01
	s_mov_b32 s25, 0xbfe9895b
	s_mov_b32 s26, 0x6ed5f1bb
	s_mov_b32 s29, 0xbfe0d888
	s_mov_b32 s30, 0x910ea3b9
	s_mov_b32 s39, 0xbfc7851a
	s_mov_b32 s40, 0x7faef3
	v_add_f64 v[142:143], v[132:133], v[116:117]
	v_mul_f64 v[146:147], v[144:145], s[22:23]
	s_mov_b32 s15, 0x3fedd6d0
	v_mul_f64 v[150:151], v[144:145], s[36:37]
	s_mov_b32 s13, 0x3fe7a5f6
	;; [unrolled: 2-line block ×8, first 2 shown]
	v_fma_f64 v[148:149], s[14:15], v[142:143], v[146:147]
	v_fma_f64 v[146:147], v[142:143], s[14:15], -v[146:147]
	v_fma_f64 v[152:153], s[12:13], v[142:143], v[150:151]
	v_fma_f64 v[150:151], v[142:143], s[12:13], -v[150:151]
	;; [unrolled: 2-line block ×8, first 2 shown]
	v_add_f64 v[144:145], v[110:111], -v[130:131]
	v_add_f64 v[140:141], v[116:117], v[104:105]
	v_add_f64 v[148:149], v[104:105], v[148:149]
	;; [unrolled: 1-line block ×18, first 2 shown]
	v_mul_f64 v[176:177], v[144:145], s[36:37]
	v_fma_f64 v[178:179], s[12:13], v[142:143], v[176:177]
	v_fma_f64 v[176:177], v[142:143], s[12:13], -v[176:177]
	v_add_f64 v[146:147], v[176:177], v[146:147]
	v_mul_f64 v[176:177], v[144:145], s[34:35]
	v_add_f64 v[148:149], v[178:179], v[148:149]
	v_fma_f64 v[178:179], s[4:5], v[142:143], v[176:177]
	v_fma_f64 v[176:177], v[142:143], s[4:5], -v[176:177]
	v_add_f64 v[150:151], v[176:177], v[150:151]
	v_mul_f64 v[176:177], v[144:145], s[24:25]
	v_add_f64 v[152:153], v[178:179], v[152:153]
	v_fma_f64 v[178:179], s[26:27], v[142:143], v[176:177]
	v_fma_f64 v[176:177], v[142:143], s[26:27], -v[176:177]
	v_add_f64 v[154:155], v[176:177], v[154:155]
	v_mul_f64 v[176:177], v[144:145], s[38:39]
	v_add_f64 v[156:157], v[178:179], v[156:157]
	v_fma_f64 v[178:179], s[40:41], v[142:143], v[176:177]
	v_fma_f64 v[176:177], v[142:143], s[40:41], -v[176:177]
	s_mov_b32 s55, 0x3fe0d888
	s_mov_b32 s54, s28
	v_add_f64 v[158:159], v[176:177], v[158:159]
	v_mul_f64 v[176:177], v[144:145], s[54:55]
	v_add_f64 v[160:161], v[178:179], v[160:161]
	v_fma_f64 v[178:179], s[30:31], v[142:143], v[176:177]
	v_fma_f64 v[176:177], v[142:143], s[30:31], -v[176:177]
	s_mov_b32 s53, 0x3feec746
	s_mov_b32 s52, s18
	v_add_f64 v[162:163], v[176:177], v[162:163]
	v_mul_f64 v[176:177], v[144:145], s[52:53]
	v_add_f64 v[164:165], v[178:179], v[164:165]
	v_fma_f64 v[178:179], s[20:21], v[142:143], v[176:177]
	v_fma_f64 v[176:177], v[142:143], s[20:21], -v[176:177]
	s_mov_b32 s43, 0x3feca52d
	s_mov_b32 s42, s46
	v_add_f64 v[166:167], v[176:177], v[166:167]
	v_mul_f64 v[176:177], v[144:145], s[42:43]
	s_mov_b32 s45, 0x3fd71e95
	s_mov_b32 s44, s22
	v_add_f64 v[168:169], v[178:179], v[168:169]
	v_fma_f64 v[178:179], s[10:11], v[142:143], v[176:177]
	v_fma_f64 v[176:177], v[142:143], s[10:11], -v[176:177]
	v_mul_f64 v[144:145], v[144:145], s[44:45]
	v_add_f64 v[170:171], v[176:177], v[170:171]
	v_fma_f64 v[176:177], s[14:15], v[142:143], v[144:145]
	v_fma_f64 v[142:143], v[142:143], s[14:15], -v[144:145]
	v_add_f64 v[144:145], v[98:99], -v[126:127]
	v_add_f64 v[174:175], v[176:177], v[174:175]
	v_add_f64 v[104:105], v[142:143], v[104:105]
	;; [unrolled: 1-line block ×3, first 2 shown]
	v_mul_f64 v[176:177], v[144:145], s[46:47]
	v_add_f64 v[172:173], v[178:179], v[172:173]
	v_fma_f64 v[178:179], s[10:11], v[142:143], v[176:177]
	v_fma_f64 v[176:177], v[142:143], s[10:11], -v[176:177]
	v_add_f64 v[146:147], v[176:177], v[146:147]
	v_mul_f64 v[176:177], v[144:145], s[24:25]
	v_add_f64 v[148:149], v[178:179], v[148:149]
	v_fma_f64 v[178:179], s[26:27], v[142:143], v[176:177]
	v_fma_f64 v[176:177], v[142:143], s[26:27], -v[176:177]
	s_mov_b32 s59, 0x3fc7851a
	s_mov_b32 s58, s38
	v_add_f64 v[150:151], v[176:177], v[150:151]
	v_mul_f64 v[176:177], v[144:145], s[58:59]
	v_add_f64 v[152:153], v[178:179], v[152:153]
	v_fma_f64 v[178:179], s[40:41], v[142:143], v[176:177]
	v_fma_f64 v[176:177], v[142:143], s[40:41], -v[176:177]
	v_add_f64 v[154:155], v[176:177], v[154:155]
	v_mul_f64 v[176:177], v[144:145], s[52:53]
	v_add_f64 v[156:157], v[178:179], v[156:157]
	v_fma_f64 v[178:179], s[20:21], v[142:143], v[176:177]
	v_fma_f64 v[176:177], v[142:143], s[20:21], -v[176:177]
	s_mov_b32 s49, 0x3fe58eea
	s_mov_b32 s48, s36
	v_add_f64 v[158:159], v[176:177], v[158:159]
	v_mul_f64 v[176:177], v[144:145], s[48:49]
	v_add_f64 v[160:161], v[178:179], v[160:161]
	v_fma_f64 v[178:179], s[12:13], v[142:143], v[176:177]
	v_fma_f64 v[176:177], v[142:143], s[12:13], -v[176:177]
	v_add_f64 v[162:163], v[176:177], v[162:163]
	v_mul_f64 v[176:177], v[144:145], s[22:23]
	v_add_f64 v[164:165], v[178:179], v[164:165]
	v_fma_f64 v[178:179], s[14:15], v[142:143], v[176:177]
	v_fma_f64 v[176:177], v[142:143], s[14:15], -v[176:177]
	;; [unrolled: 5-line block ×3, first 2 shown]
	v_mul_f64 v[144:145], v[144:145], s[28:29]
	v_add_f64 v[170:171], v[176:177], v[170:171]
	v_fma_f64 v[176:177], s[30:31], v[142:143], v[144:145]
	v_fma_f64 v[142:143], v[142:143], s[30:31], -v[144:145]
	v_add_f64 v[144:145], v[94:95], -v[122:123]
	v_add_f64 v[174:175], v[176:177], v[174:175]
	v_add_f64 v[104:105], v[142:143], v[104:105]
	;; [unrolled: 1-line block ×3, first 2 shown]
	v_mul_f64 v[176:177], v[144:145], s[34:35]
	v_add_f64 v[172:173], v[178:179], v[172:173]
	v_fma_f64 v[178:179], s[4:5], v[142:143], v[176:177]
	v_fma_f64 v[176:177], v[142:143], s[4:5], -v[176:177]
	v_add_f64 v[146:147], v[176:177], v[146:147]
	v_mul_f64 v[176:177], v[144:145], s[38:39]
	v_add_f64 v[148:149], v[178:179], v[148:149]
	v_fma_f64 v[178:179], s[40:41], v[142:143], v[176:177]
	v_fma_f64 v[176:177], v[142:143], s[40:41], -v[176:177]
	v_add_f64 v[150:151], v[176:177], v[150:151]
	;; [unrolled: 5-line block ×5, first 2 shown]
	v_mul_f64 v[176:177], v[144:145], s[28:29]
	v_add_f64 v[164:165], v[178:179], v[164:165]
	v_fma_f64 v[178:179], s[30:31], v[142:143], v[176:177]
	v_fma_f64 v[176:177], v[142:143], s[30:31], -v[176:177]
	s_mov_b32 s57, 0x3fe9895b
	s_mov_b32 s56, s24
	v_add_f64 v[166:167], v[176:177], v[166:167]
	v_mul_f64 v[176:177], v[144:145], s[56:57]
	v_add_f64 v[168:169], v[178:179], v[168:169]
	v_fma_f64 v[178:179], s[26:27], v[142:143], v[176:177]
	v_fma_f64 v[176:177], v[142:143], s[26:27], -v[176:177]
	v_mul_f64 v[144:145], v[144:145], s[48:49]
	v_add_f64 v[170:171], v[176:177], v[170:171]
	v_fma_f64 v[176:177], s[12:13], v[142:143], v[144:145]
	v_fma_f64 v[142:143], v[142:143], s[12:13], -v[144:145]
	v_add_f64 v[144:145], v[86:87], -v[102:103]
	v_add_f64 v[174:175], v[176:177], v[174:175]
	v_add_f64 v[104:105], v[142:143], v[104:105]
	;; [unrolled: 1-line block ×3, first 2 shown]
	v_mul_f64 v[176:177], v[144:145], s[18:19]
	v_add_f64 v[172:173], v[178:179], v[172:173]
	v_fma_f64 v[178:179], s[20:21], v[142:143], v[176:177]
	v_fma_f64 v[176:177], v[142:143], s[20:21], -v[176:177]
	v_add_f64 v[146:147], v[176:177], v[146:147]
	v_mul_f64 v[176:177], v[144:145], s[54:55]
	v_add_f64 v[148:149], v[178:179], v[148:149]
	v_fma_f64 v[178:179], s[30:31], v[142:143], v[176:177]
	v_fma_f64 v[176:177], v[142:143], s[30:31], -v[176:177]
	v_add_f64 v[150:151], v[176:177], v[150:151]
	;; [unrolled: 5-line block ×4, first 2 shown]
	v_mul_f64 v[176:177], v[144:145], s[38:39]
	v_add_f64 v[160:161], v[178:179], v[160:161]
	v_fma_f64 v[178:179], s[40:41], v[142:143], v[176:177]
	v_fma_f64 v[176:177], v[142:143], s[40:41], -v[176:177]
	s_mov_b32 s51, 0x3fefdd0d
	s_mov_b32 s50, s34
	v_add_f64 v[162:163], v[176:177], v[162:163]
	v_mul_f64 v[176:177], v[144:145], s[50:51]
	v_add_f64 v[164:165], v[178:179], v[164:165]
	v_fma_f64 v[178:179], s[4:5], v[142:143], v[176:177]
	v_fma_f64 v[176:177], v[142:143], s[4:5], -v[176:177]
	v_add_f64 v[166:167], v[176:177], v[166:167]
	v_mul_f64 v[176:177], v[144:145], s[22:23]
	v_add_f64 v[168:169], v[178:179], v[168:169]
	v_fma_f64 v[178:179], s[14:15], v[142:143], v[176:177]
	v_fma_f64 v[176:177], v[142:143], s[14:15], -v[176:177]
	v_mul_f64 v[144:145], v[144:145], s[24:25]
	v_add_f64 v[170:171], v[176:177], v[170:171]
	v_fma_f64 v[176:177], s[26:27], v[142:143], v[144:145]
	v_fma_f64 v[142:143], v[142:143], s[26:27], -v[144:145]
	v_add_f64 v[144:145], v[74:75], -v[90:91]
	v_add_f64 v[174:175], v[176:177], v[174:175]
	v_add_f64 v[104:105], v[142:143], v[104:105]
	;; [unrolled: 1-line block ×3, first 2 shown]
	v_mul_f64 v[176:177], v[144:145], s[24:25]
	v_add_f64 v[172:173], v[178:179], v[172:173]
	v_fma_f64 v[178:179], s[26:27], v[142:143], v[176:177]
	v_fma_f64 v[176:177], v[142:143], s[26:27], -v[176:177]
	v_add_f64 v[146:147], v[176:177], v[146:147]
	v_mul_f64 v[176:177], v[144:145], s[52:53]
	v_add_f64 v[148:149], v[178:179], v[148:149]
	v_fma_f64 v[178:179], s[20:21], v[142:143], v[176:177]
	v_fma_f64 v[176:177], v[142:143], s[20:21], -v[176:177]
	v_add_f64 v[150:151], v[176:177], v[150:151]
	;; [unrolled: 5-line block ×6, first 2 shown]
	v_mul_f64 v[176:177], v[144:145], s[38:39]
	v_add_f64 v[168:169], v[178:179], v[168:169]
	v_fma_f64 v[178:179], s[40:41], v[142:143], v[176:177]
	v_fma_f64 v[176:177], v[142:143], s[40:41], -v[176:177]
	v_mul_f64 v[144:145], v[144:145], s[42:43]
	v_add_f64 v[170:171], v[176:177], v[170:171]
	v_fma_f64 v[176:177], s[10:11], v[142:143], v[144:145]
	v_fma_f64 v[142:143], v[142:143], s[10:11], -v[144:145]
	v_add_f64 v[144:145], v[66:67], -v[78:79]
	v_add_f64 v[174:175], v[176:177], v[174:175]
	v_add_f64 v[104:105], v[142:143], v[104:105]
	v_add_f64 v[142:143], v[76:77], v[64:65]
	v_mul_f64 v[176:177], v[144:145], s[28:29]
	v_add_f64 v[172:173], v[178:179], v[172:173]
	v_fma_f64 v[178:179], s[30:31], v[142:143], v[176:177]
	v_fma_f64 v[176:177], v[142:143], s[30:31], -v[176:177]
	v_add_f64 v[146:147], v[176:177], v[146:147]
	v_mul_f64 v[176:177], v[144:145], s[42:43]
	v_add_f64 v[148:149], v[178:179], v[148:149]
	v_fma_f64 v[178:179], s[10:11], v[142:143], v[176:177]
	v_fma_f64 v[176:177], v[142:143], s[10:11], -v[176:177]
	v_add_f64 v[150:151], v[176:177], v[150:151]
	v_mul_f64 v[176:177], v[144:145], s[34:35]
	v_add_f64 v[152:153], v[178:179], v[152:153]
	v_fma_f64 v[178:179], s[4:5], v[142:143], v[176:177]
	v_fma_f64 v[176:177], v[142:143], s[4:5], -v[176:177]
	v_add_f64 v[154:155], v[176:177], v[154:155]
	v_mul_f64 v[176:177], v[144:145], s[56:57]
	v_add_f64 v[156:157], v[178:179], v[156:157]
	v_fma_f64 v[178:179], s[26:27], v[142:143], v[176:177]
	v_fma_f64 v[176:177], v[142:143], s[26:27], -v[176:177]
	v_add_f64 v[158:159], v[176:177], v[158:159]
	v_mul_f64 v[176:177], v[144:145], s[22:23]
	v_add_f64 v[160:161], v[178:179], v[160:161]
	v_fma_f64 v[178:179], s[14:15], v[142:143], v[176:177]
	v_fma_f64 v[176:177], v[142:143], s[14:15], -v[176:177]
	v_add_f64 v[162:163], v[176:177], v[162:163]
	v_mul_f64 v[176:177], v[144:145], s[38:39]
	v_add_f64 v[164:165], v[178:179], v[164:165]
	v_fma_f64 v[178:179], s[40:41], v[142:143], v[176:177]
	v_fma_f64 v[176:177], v[142:143], s[40:41], -v[176:177]
	v_add_f64 v[166:167], v[176:177], v[166:167]
	v_mul_f64 v[176:177], v[144:145], s[48:49]
	v_add_f64 v[168:169], v[178:179], v[168:169]
	v_fma_f64 v[178:179], s[12:13], v[142:143], v[176:177]
	v_fma_f64 v[176:177], v[142:143], s[12:13], -v[176:177]
	v_mul_f64 v[144:145], v[144:145], s[18:19]
	v_add_f64 v[170:171], v[176:177], v[170:171]
	v_fma_f64 v[176:177], s[20:21], v[142:143], v[144:145]
	v_fma_f64 v[142:143], v[142:143], s[20:21], -v[144:145]
	v_add_f64 v[144:145], v[58:59], -v[62:63]
	v_add_f64 v[140:141], v[108:109], v[140:141]
	v_add_f64 v[174:175], v[176:177], v[174:175]
	;; [unrolled: 1-line block ×4, first 2 shown]
	v_mul_f64 v[176:177], v[144:145], s[38:39]
	v_add_f64 v[140:141], v[96:97], v[140:141]
	v_add_f64 v[172:173], v[178:179], v[172:173]
	v_fma_f64 v[178:179], s[40:41], v[142:143], v[176:177]
	v_fma_f64 v[176:177], v[142:143], s[40:41], -v[176:177]
	v_add_f64 v[140:141], v[92:93], v[140:141]
	v_add_f64 v[146:147], v[176:177], v[146:147]
	v_mul_f64 v[176:177], v[144:145], s[44:45]
	v_add_f64 v[140:141], v[84:85], v[140:141]
	v_add_f64 v[148:149], v[178:179], v[148:149]
	v_fma_f64 v[178:179], s[14:15], v[142:143], v[176:177]
	v_fma_f64 v[176:177], v[142:143], s[14:15], -v[176:177]
	v_add_f64 v[140:141], v[72:73], v[140:141]
	v_add_f64 v[150:151], v[176:177], v[150:151]
	;; [unrolled: 7-line block ×6, first 2 shown]
	v_mul_f64 v[176:177], v[144:145], s[18:19]
	v_add_f64 v[140:141], v[128:129], v[140:141]
	v_add_f64 v[168:169], v[178:179], v[168:169]
	v_fma_f64 v[178:179], s[20:21], v[142:143], v[176:177]
	v_fma_f64 v[176:177], v[142:143], s[20:21], -v[176:177]
	v_mul_f64 v[144:145], v[144:145], s[50:51]
	s_movk_i32 s0, 0x88
	v_add_f64 v[140:141], v[132:133], v[140:141]
	v_add_f64 v[170:171], v[176:177], v[170:171]
	v_fma_f64 v[176:177], s[4:5], v[142:143], v[144:145]
	v_fma_f64 v[142:143], v[142:143], s[4:5], -v[144:145]
	v_mad_u32_u24 v185, v184, s0, 0
	v_cmp_gt_u32_e64 s[0:1], 30, v184
	v_add_f64 v[172:173], v[178:179], v[172:173]
	v_add_f64 v[174:175], v[176:177], v[174:175]
	;; [unrolled: 1-line block ×3, first 2 shown]
	ds_write2_b64 v185, v[140:141], v[148:149] offset1:1
	ds_write2_b64 v185, v[152:153], v[156:157] offset0:2 offset1:3
	ds_write2_b64 v185, v[160:161], v[164:165] offset0:4 offset1:5
	;; [unrolled: 1-line block ×7, first 2 shown]
	ds_write_b64 v185, v[146:147] offset:128
	s_and_saveexec_b64 s[60:61], s[0:1]
	s_cbranch_execz .LBB0_17
; %bb.16:
	v_add_f64 v[174:175], v[112:113], v[52:53]
	v_add_f64 v[172:173], v[80:81], v[40:41]
	v_mul_f64 v[200:201], v[174:175], s[40:41]
	v_add_f64 v[158:159], v[54:55], -v[114:115]
	v_add_f64 v[170:171], v[68:69], v[28:29]
	v_mul_f64 v[196:197], v[172:173], s[14:15]
	v_add_f64 v[156:157], v[42:43], -v[82:83]
	v_fma_f64 v[202:203], s[58:59], v[158:159], v[200:201]
	v_add_f64 v[168:169], v[48:49], v[24:25]
	v_mul_f64 v[192:193], v[170:171], s[30:31]
	v_add_f64 v[152:153], v[30:31], -v[70:71]
	v_fma_f64 v[198:199], s[22:23], v[156:157], v[196:197]
	v_add_f64 v[202:203], v[36:37], v[202:203]
	v_add_f64 v[166:167], v[44:45], v[16:17]
	v_mul_f64 v[188:189], v[168:169], s[12:13]
	v_add_f64 v[150:151], v[26:27], -v[50:51]
	v_fma_f64 v[194:195], s[54:55], v[152:153], v[192:193]
	v_add_f64 v[198:199], v[198:199], v[202:203]
	;; [unrolled: 5-line block ×5, first 2 shown]
	v_mul_f64 v[140:141], v[160:161], s[4:5]
	v_add_f64 v[142:143], v[2:3], -v[6:7]
	v_fma_f64 v[176:177], s[52:53], v[144:145], v[154:155]
	v_add_f64 v[180:181], v[180:181], v[186:187]
	v_fma_f64 v[104:105], s[34:35], v[142:143], v[140:141]
	v_add_f64 v[176:177], v[176:177], v[180:181]
	v_fmac_f64_e32 v[200:201], s[38:39], v[158:159]
	v_mul_f64 v[204:205], v[174:175], s[30:31]
	v_add_f64 v[104:105], v[104:105], v[176:177]
	v_fmac_f64_e32 v[196:197], s[44:45], v[156:157]
	v_add_f64 v[176:177], v[36:37], v[200:201]
	v_mul_f64 v[200:201], v[172:173], s[10:11]
	v_fma_f64 v[206:207], s[54:55], v[158:159], v[204:205]
	v_fmac_f64_e32 v[192:193], s[28:29], v[152:153]
	v_add_f64 v[176:177], v[196:197], v[176:177]
	v_mul_f64 v[196:197], v[170:171], s[4:5]
	v_fma_f64 v[202:203], s[46:47], v[156:157], v[200:201]
	v_add_f64 v[206:207], v[36:37], v[206:207]
	v_fmac_f64_e32 v[188:189], s[48:49], v[150:151]
	v_add_f64 v[176:177], v[192:193], v[176:177]
	v_mul_f64 v[192:193], v[168:169], s[26:27]
	v_fma_f64 v[198:199], s[50:51], v[152:153], v[196:197]
	v_add_f64 v[202:203], v[202:203], v[206:207]
	v_fmac_f64_e32 v[182:183], s[24:25], v[148:149]
	v_add_f64 v[176:177], v[188:189], v[176:177]
	v_mul_f64 v[188:189], v[166:167], s[14:15]
	v_fma_f64 v[194:195], s[24:25], v[150:151], v[192:193]
	v_add_f64 v[198:199], v[198:199], v[202:203]
	v_fmac_f64_e32 v[178:179], s[42:43], v[146:147]
	v_add_f64 v[176:177], v[182:183], v[176:177]
	v_mul_f64 v[182:183], v[164:165], s[40:41]
	v_fma_f64 v[190:191], s[44:45], v[148:149], v[188:189]
	v_add_f64 v[194:195], v[194:195], v[198:199]
	v_fmac_f64_e32 v[154:155], s[18:19], v[144:145]
	v_add_f64 v[176:177], v[178:179], v[176:177]
	v_mul_f64 v[178:179], v[162:163], s[12:13]
	v_fma_f64 v[186:187], s[58:59], v[146:147], v[182:183]
	v_add_f64 v[190:191], v[190:191], v[194:195]
	v_fmac_f64_e32 v[140:141], s[50:51], v[142:143]
	v_add_f64 v[154:155], v[154:155], v[176:177]
	v_mul_f64 v[176:177], v[160:161], s[20:21]
	v_fma_f64 v[180:181], s[36:37], v[144:145], v[178:179]
	v_add_f64 v[186:187], v[186:187], v[190:191]
	v_add_f64 v[140:141], v[140:141], v[154:155]
	v_fma_f64 v[154:155], s[52:53], v[142:143], v[176:177]
	v_add_f64 v[180:181], v[180:181], v[186:187]
	v_fmac_f64_e32 v[204:205], s[28:29], v[158:159]
	v_mul_f64 v[208:209], v[174:175], s[26:27]
	v_add_f64 v[154:155], v[154:155], v[180:181]
	v_fmac_f64_e32 v[200:201], s[42:43], v[156:157]
	v_add_f64 v[180:181], v[36:37], v[204:205]
	v_mul_f64 v[204:205], v[172:173], s[20:21]
	v_fma_f64 v[210:211], s[56:57], v[158:159], v[208:209]
	v_fmac_f64_e32 v[196:197], s[34:35], v[152:153]
	v_add_f64 v[180:181], v[200:201], v[180:181]
	v_mul_f64 v[200:201], v[170:171], s[14:15]
	v_fma_f64 v[206:207], s[18:19], v[156:157], v[204:205]
	v_add_f64 v[210:211], v[36:37], v[210:211]
	v_fmac_f64_e32 v[192:193], s[56:57], v[150:151]
	v_add_f64 v[180:181], v[196:197], v[180:181]
	v_mul_f64 v[196:197], v[168:169], s[30:31]
	v_fma_f64 v[202:203], s[44:45], v[152:153], v[200:201]
	v_add_f64 v[206:207], v[206:207], v[210:211]
	v_fmac_f64_e32 v[188:189], s[22:23], v[148:149]
	v_add_f64 v[180:181], v[192:193], v[180:181]
	v_mul_f64 v[192:193], v[166:167], s[4:5]
	v_fma_f64 v[198:199], s[54:55], v[150:151], v[196:197]
	v_add_f64 v[202:203], v[202:203], v[206:207]
	v_fmac_f64_e32 v[182:183], s[38:39], v[146:147]
	v_add_f64 v[180:181], v[188:189], v[180:181]
	v_mul_f64 v[188:189], v[164:165], s[12:13]
	v_fma_f64 v[194:195], s[34:35], v[148:149], v[192:193]
	v_add_f64 v[198:199], v[198:199], v[202:203]
	v_fmac_f64_e32 v[178:179], s[48:49], v[144:145]
	v_add_f64 v[180:181], v[182:183], v[180:181]
	v_mul_f64 v[182:183], v[162:163], s[40:41]
	v_fma_f64 v[190:191], s[48:49], v[146:147], v[188:189]
	v_add_f64 v[194:195], v[194:195], v[198:199]
	v_fmac_f64_e32 v[176:177], s[18:19], v[142:143]
	v_add_f64 v[178:179], v[178:179], v[180:181]
	v_mul_f64 v[180:181], v[160:161], s[10:11]
	v_fma_f64 v[186:187], s[58:59], v[144:145], v[182:183]
	v_add_f64 v[190:191], v[190:191], v[194:195]
	v_add_f64 v[176:177], v[176:177], v[178:179]
	v_fma_f64 v[178:179], s[46:47], v[142:143], v[180:181]
	v_add_f64 v[186:187], v[186:187], v[190:191]
	v_fmac_f64_e32 v[208:209], s[24:25], v[158:159]
	v_mul_f64 v[212:213], v[174:175], s[20:21]
	v_add_f64 v[178:179], v[178:179], v[186:187]
	v_fmac_f64_e32 v[204:205], s[52:53], v[156:157]
	v_add_f64 v[186:187], v[36:37], v[208:209]
	v_mul_f64 v[208:209], v[172:173], s[30:31]
	v_fma_f64 v[214:215], s[52:53], v[158:159], v[212:213]
	v_fmac_f64_e32 v[200:201], s[22:23], v[152:153]
	v_add_f64 v[186:187], v[204:205], v[186:187]
	v_mul_f64 v[204:205], v[170:171], s[12:13]
	v_fma_f64 v[210:211], s[28:29], v[156:157], v[208:209]
	v_add_f64 v[214:215], v[36:37], v[214:215]
	v_fmac_f64_e32 v[196:197], s[28:29], v[150:151]
	v_add_f64 v[186:187], v[200:201], v[186:187]
	v_mul_f64 v[200:201], v[168:169], s[10:11]
	v_fma_f64 v[206:207], s[36:37], v[152:153], v[204:205]
	v_add_f64 v[210:211], v[210:211], v[214:215]
	v_fmac_f64_e32 v[192:193], s[50:51], v[148:149]
	v_add_f64 v[186:187], v[196:197], v[186:187]
	v_mul_f64 v[196:197], v[166:167], s[40:41]
	v_fma_f64 v[202:203], s[42:43], v[150:151], v[200:201]
	v_add_f64 v[206:207], v[206:207], v[210:211]
	v_fmac_f64_e32 v[188:189], s[36:37], v[146:147]
	v_add_f64 v[186:187], v[192:193], v[186:187]
	v_mul_f64 v[192:193], v[164:165], s[4:5]
	v_fma_f64 v[198:199], s[58:59], v[148:149], v[196:197]
	v_add_f64 v[202:203], v[202:203], v[206:207]
	v_fmac_f64_e32 v[182:183], s[38:39], v[144:145]
	v_add_f64 v[186:187], v[188:189], v[186:187]
	v_mul_f64 v[188:189], v[162:163], s[14:15]
	v_fma_f64 v[194:195], s[34:35], v[146:147], v[192:193]
	v_add_f64 v[198:199], v[198:199], v[202:203]
	v_fmac_f64_e32 v[180:181], s[42:43], v[142:143]
	v_add_f64 v[182:183], v[182:183], v[186:187]
	v_mul_f64 v[186:187], v[160:161], s[26:27]
	v_fma_f64 v[190:191], s[44:45], v[144:145], v[188:189]
	v_add_f64 v[194:195], v[194:195], v[198:199]
	v_add_f64 v[180:181], v[180:181], v[182:183]
	v_fma_f64 v[182:183], s[56:57], v[142:143], v[186:187]
	v_add_f64 v[190:191], v[190:191], v[194:195]
	v_fmac_f64_e32 v[212:213], s[18:19], v[158:159]
	v_add_f64 v[182:183], v[182:183], v[190:191]
	v_fmac_f64_e32 v[208:209], s[54:55], v[156:157]
	v_add_f64 v[190:191], v[36:37], v[212:213]
	v_mul_f64 v[216:217], v[174:175], s[4:5]
	v_fmac_f64_e32 v[204:205], s[48:49], v[152:153]
	v_add_f64 v[190:191], v[208:209], v[190:191]
	v_mul_f64 v[212:213], v[172:173], s[40:41]
	v_fma_f64 v[218:219], s[50:51], v[158:159], v[216:217]
	v_fmac_f64_e32 v[200:201], s[46:47], v[150:151]
	v_add_f64 v[190:191], v[204:205], v[190:191]
	v_mul_f64 v[208:209], v[170:171], s[20:21]
	v_fma_f64 v[214:215], s[58:59], v[156:157], v[212:213]
	v_add_f64 v[218:219], v[36:37], v[218:219]
	v_fmac_f64_e32 v[196:197], s[38:39], v[148:149]
	v_add_f64 v[190:191], v[200:201], v[190:191]
	v_mul_f64 v[204:205], v[168:169], s[14:15]
	v_fma_f64 v[210:211], s[18:19], v[152:153], v[208:209]
	v_add_f64 v[214:215], v[214:215], v[218:219]
	v_fmac_f64_e32 v[192:193], s[50:51], v[146:147]
	v_add_f64 v[190:191], v[196:197], v[190:191]
	v_mul_f64 v[200:201], v[166:167], s[10:11]
	v_fma_f64 v[206:207], s[22:23], v[150:151], v[204:205]
	v_add_f64 v[210:211], v[210:211], v[214:215]
	v_fmac_f64_e32 v[188:189], s[22:23], v[144:145]
	v_add_f64 v[190:191], v[192:193], v[190:191]
	v_mul_f64 v[196:197], v[164:165], s[30:31]
	v_fma_f64 v[202:203], s[42:43], v[148:149], v[200:201]
	v_add_f64 v[206:207], v[206:207], v[210:211]
	v_fmac_f64_e32 v[186:187], s[24:25], v[142:143]
	v_add_f64 v[188:189], v[188:189], v[190:191]
	v_mul_f64 v[192:193], v[162:163], s[26:27]
	v_fma_f64 v[198:199], s[54:55], v[146:147], v[196:197]
	v_add_f64 v[202:203], v[202:203], v[206:207]
	v_add_f64 v[186:187], v[186:187], v[188:189]
	v_mul_f64 v[188:189], v[160:161], s[12:13]
	v_fma_f64 v[194:195], s[24:25], v[144:145], v[192:193]
	v_add_f64 v[198:199], v[198:199], v[202:203]
	v_fma_f64 v[190:191], s[36:37], v[142:143], v[188:189]
	v_add_f64 v[194:195], v[194:195], v[198:199]
	v_fmac_f64_e32 v[216:217], s[34:35], v[158:159]
	v_add_f64 v[190:191], v[190:191], v[194:195]
	v_fmac_f64_e32 v[212:213], s[38:39], v[156:157]
	v_add_f64 v[194:195], v[36:37], v[216:217]
	v_mul_f64 v[220:221], v[174:175], s[10:11]
	v_fmac_f64_e32 v[208:209], s[52:53], v[152:153]
	v_add_f64 v[194:195], v[212:213], v[194:195]
	v_mul_f64 v[216:217], v[172:173], s[26:27]
	v_fma_f64 v[222:223], s[42:43], v[158:159], v[220:221]
	v_fmac_f64_e32 v[204:205], s[44:45], v[150:151]
	v_add_f64 v[194:195], v[208:209], v[194:195]
	v_mul_f64 v[212:213], v[170:171], s[40:41]
	v_fma_f64 v[218:219], s[56:57], v[156:157], v[216:217]
	v_add_f64 v[222:223], v[36:37], v[222:223]
	v_fmac_f64_e32 v[200:201], s[46:47], v[148:149]
	v_add_f64 v[194:195], v[204:205], v[194:195]
	v_mul_f64 v[208:209], v[168:169], s[20:21]
	v_fma_f64 v[214:215], s[38:39], v[152:153], v[212:213]
	v_add_f64 v[218:219], v[218:219], v[222:223]
	v_fmac_f64_e32 v[196:197], s[28:29], v[146:147]
	v_add_f64 v[194:195], v[200:201], v[194:195]
	v_mul_f64 v[204:205], v[166:167], s[12:13]
	v_fma_f64 v[210:211], s[18:19], v[150:151], v[208:209]
	v_add_f64 v[214:215], v[214:215], v[218:219]
	v_fmac_f64_e32 v[192:193], s[56:57], v[144:145]
	v_add_f64 v[194:195], v[196:197], v[194:195]
	v_mul_f64 v[200:201], v[164:165], s[14:15]
	v_fma_f64 v[206:207], s[36:37], v[148:149], v[204:205]
	v_add_f64 v[210:211], v[210:211], v[214:215]
	v_fmac_f64_e32 v[188:189], s[48:49], v[142:143]
	v_add_f64 v[192:193], v[192:193], v[194:195]
	v_mul_f64 v[196:197], v[162:163], s[4:5]
	v_fma_f64 v[202:203], s[44:45], v[146:147], v[200:201]
	v_add_f64 v[206:207], v[206:207], v[210:211]
	v_add_f64 v[188:189], v[188:189], v[192:193]
	v_mul_f64 v[192:193], v[160:161], s[30:31]
	v_fma_f64 v[198:199], s[50:51], v[144:145], v[196:197]
	v_add_f64 v[202:203], v[202:203], v[206:207]
	v_fma_f64 v[194:195], s[54:55], v[142:143], v[192:193]
	v_add_f64 v[198:199], v[198:199], v[202:203]
	v_fmac_f64_e32 v[220:221], s[46:47], v[158:159]
	v_add_f64 v[194:195], v[194:195], v[198:199]
	v_fmac_f64_e32 v[216:217], s[24:25], v[156:157]
	v_add_f64 v[198:199], v[36:37], v[220:221]
	v_mul_f64 v[224:225], v[174:175], s[12:13]
	v_fmac_f64_e32 v[212:213], s[58:59], v[152:153]
	v_add_f64 v[198:199], v[216:217], v[198:199]
	v_mul_f64 v[220:221], v[172:173], s[4:5]
	v_fma_f64 v[226:227], s[48:49], v[158:159], v[224:225]
	v_fmac_f64_e32 v[208:209], s[52:53], v[150:151]
	v_add_f64 v[198:199], v[212:213], v[198:199]
	v_mul_f64 v[216:217], v[170:171], s[26:27]
	v_fma_f64 v[222:223], s[50:51], v[156:157], v[220:221]
	v_add_f64 v[226:227], v[36:37], v[226:227]
	v_fmac_f64_e32 v[204:205], s[48:49], v[148:149]
	v_add_f64 v[198:199], v[208:209], v[198:199]
	v_mul_f64 v[212:213], v[168:169], s[40:41]
	v_fma_f64 v[218:219], s[56:57], v[152:153], v[216:217]
	v_add_f64 v[222:223], v[222:223], v[226:227]
	v_fmac_f64_e32 v[200:201], s[22:23], v[146:147]
	v_add_f64 v[198:199], v[204:205], v[198:199]
	v_mul_f64 v[208:209], v[166:167], s[30:31]
	v_fma_f64 v[214:215], s[58:59], v[150:151], v[212:213]
	v_add_f64 v[218:219], v[218:219], v[222:223]
	v_fmac_f64_e32 v[196:197], s[34:35], v[144:145]
	v_add_f64 v[198:199], v[200:201], v[198:199]
	v_mul_f64 v[204:205], v[164:165], s[20:21]
	v_fma_f64 v[210:211], s[28:29], v[148:149], v[208:209]
	v_add_f64 v[214:215], v[214:215], v[218:219]
	v_fmac_f64_e32 v[192:193], s[28:29], v[142:143]
	v_add_f64 v[196:197], v[196:197], v[198:199]
	v_mul_f64 v[200:201], v[162:163], s[10:11]
	v_fma_f64 v[206:207], s[18:19], v[146:147], v[204:205]
	v_add_f64 v[210:211], v[210:211], v[214:215]
	v_add_f64 v[192:193], v[192:193], v[196:197]
	v_mul_f64 v[196:197], v[160:161], s[14:15]
	v_fma_f64 v[202:203], s[46:47], v[144:145], v[200:201]
	v_add_f64 v[206:207], v[206:207], v[210:211]
	v_fma_f64 v[198:199], s[22:23], v[142:143], v[196:197]
	v_add_f64 v[202:203], v[202:203], v[206:207]
	v_fmac_f64_e32 v[224:225], s[36:37], v[158:159]
	v_add_f64 v[198:199], v[198:199], v[202:203]
	v_fmac_f64_e32 v[220:221], s[34:35], v[156:157]
	;; [unrolled: 2-line block ×7, first 2 shown]
	v_add_f64 v[202:203], v[204:205], v[202:203]
	v_mul_f64 v[174:175], v[174:175], s[14:15]
	v_fmac_f64_e32 v[196:197], s[44:45], v[142:143]
	v_add_f64 v[200:201], v[200:201], v[202:203]
	v_mul_f64 v[160:161], v[160:161], s[40:41]
	v_fma_f64 v[214:215], s[44:45], v[158:159], v[174:175]
	v_fmac_f64_e32 v[174:175], s[22:23], v[158:159]
	v_add_f64 v[196:197], v[196:197], v[200:201]
	v_fma_f64 v[200:201], s[58:59], v[142:143], v[160:161]
	v_add_f64 v[214:215], v[36:37], v[214:215]
	v_fmac_f64_e32 v[160:161], s[38:39], v[142:143]
	v_add_f64 v[142:143], v[36:37], v[174:175]
	v_add_f64 v[36:37], v[52:53], v[36:37]
	;; [unrolled: 1-line block ×8, first 2 shown]
	v_mul_f64 v[172:173], v[172:173], s[12:13]
	v_add_f64 v[36:37], v[0:1], v[36:37]
	v_mul_f64 v[170:171], v[170:171], s[10:11]
	v_fma_f64 v[212:213], s[48:49], v[156:157], v[172:173]
	v_fmac_f64_e32 v[172:173], s[36:37], v[156:157]
	v_add_f64 v[36:37], v[4:5], v[36:37]
	v_mul_f64 v[168:169], v[168:169], s[4:5]
	v_fma_f64 v[210:211], s[42:43], v[152:153], v[170:171]
	v_fmac_f64_e32 v[170:171], s[46:47], v[152:153]
	v_add_f64 v[142:143], v[172:173], v[142:143]
	v_add_f64 v[36:37], v[20:21], v[36:37]
	v_mul_f64 v[166:167], v[166:167], s[20:21]
	v_fma_f64 v[208:209], s[50:51], v[150:151], v[168:169]
	v_fmac_f64_e32 v[168:169], s[34:35], v[150:151]
	v_add_f64 v[142:143], v[170:171], v[142:143]
	;; [unrolled: 5-line block ×4, first 2 shown]
	v_add_f64 v[36:37], v[48:49], v[36:37]
	v_fma_f64 v[202:203], s[54:55], v[144:145], v[162:163]
	v_fmac_f64_e32 v[162:163], s[28:29], v[144:145]
	v_add_f64 v[142:143], v[164:165], v[142:143]
	v_add_f64 v[36:37], v[68:69], v[36:37]
	;; [unrolled: 1-line block ×6, first 2 shown]
	v_add_u32_e32 v144, 0x1b18, v185
	ds_write2_b64 v144, v[36:37], v[142:143] offset1:1
	v_add_u32_e32 v36, 0x1b28, v185
	v_add_f64 v[212:213], v[212:213], v[214:215]
	ds_write2_b64 v36, v[196:197], v[192:193] offset1:1
	v_add_u32_e32 v36, 0x1b38, v185
	v_add_f64 v[210:211], v[210:211], v[212:213]
	;; [unrolled: 3-line block ×7, first 2 shown]
	ds_write2_b64 v36, v[194:195], v[198:199] offset1:1
	ds_write_b64 v185, v[200:201] offset:7064
.LBB0_17:
	s_or_b64 exec, exec, s[60:61]
	v_add_f64 v[36:37], v[118:119], v[106:107]
	v_add_f64 v[36:37], v[110:111], v[36:37]
	;; [unrolled: 1-line block ×15, first 2 shown]
	v_add_f64 v[104:105], v[116:117], -v[132:133]
	v_add_f64 v[140:141], v[134:135], v[36:37]
	v_add_f64 v[36:37], v[134:135], v[118:119]
	v_mul_f64 v[116:117], v[104:105], s[22:23]
	v_mul_f64 v[132:133], v[104:105], s[36:37]
	;; [unrolled: 1-line block ×8, first 2 shown]
	v_fma_f64 v[118:119], v[36:37], s[14:15], -v[116:117]
	v_fmac_f64_e32 v[116:117], s[14:15], v[36:37]
	v_fma_f64 v[134:135], v[36:37], s[12:13], -v[132:133]
	v_fmac_f64_e32 v[132:133], s[12:13], v[36:37]
	v_fma_f64 v[144:145], v[36:37], s[10:11], -v[142:143]
	v_fmac_f64_e32 v[142:143], s[10:11], v[36:37]
	v_fma_f64 v[148:149], v[36:37], s[4:5], -v[146:147]
	v_fmac_f64_e32 v[146:147], s[4:5], v[36:37]
	v_fma_f64 v[152:153], v[36:37], s[20:21], -v[150:151]
	v_fmac_f64_e32 v[150:151], s[20:21], v[36:37]
	v_fma_f64 v[156:157], v[36:37], s[26:27], -v[154:155]
	v_fmac_f64_e32 v[154:155], s[26:27], v[36:37]
	v_fma_f64 v[160:161], v[36:37], s[30:31], -v[158:159]
	v_fmac_f64_e32 v[158:159], s[30:31], v[36:37]
	v_fma_f64 v[162:163], v[36:37], s[40:41], -v[104:105]
	v_fmac_f64_e32 v[104:105], s[40:41], v[36:37]
	v_add_f64 v[118:119], v[106:107], v[118:119]
	v_add_f64 v[116:117], v[106:107], v[116:117]
	v_add_f64 v[134:135], v[106:107], v[134:135]
	v_add_f64 v[132:133], v[106:107], v[132:133]
	v_add_f64 v[144:145], v[106:107], v[144:145]
	v_add_f64 v[142:143], v[106:107], v[142:143]
	v_add_f64 v[148:149], v[106:107], v[148:149]
	v_add_f64 v[146:147], v[106:107], v[146:147]
	v_add_f64 v[152:153], v[106:107], v[152:153]
	v_add_f64 v[150:151], v[106:107], v[150:151]
	v_add_f64 v[156:157], v[106:107], v[156:157]
	v_add_f64 v[154:155], v[106:107], v[154:155]
	v_add_f64 v[160:161], v[106:107], v[160:161]
	v_add_f64 v[158:159], v[106:107], v[158:159]
	v_add_f64 v[162:163], v[106:107], v[162:163]
	v_add_f64 v[36:37], v[106:107], v[104:105]
	v_add_f64 v[106:107], v[108:109], -v[128:129]
	v_add_f64 v[104:105], v[130:131], v[110:111]
	v_mul_f64 v[108:109], v[106:107], s[36:37]
	v_fma_f64 v[110:111], v[104:105], s[12:13], -v[108:109]
	v_fmac_f64_e32 v[108:109], s[12:13], v[104:105]
	v_add_f64 v[108:109], v[108:109], v[116:117]
	v_mul_f64 v[116:117], v[106:107], s[34:35]
	v_add_f64 v[110:111], v[110:111], v[118:119]
	v_fma_f64 v[118:119], v[104:105], s[4:5], -v[116:117]
	v_fmac_f64_e32 v[116:117], s[4:5], v[104:105]
	v_mul_f64 v[128:129], v[106:107], s[24:25]
	v_add_f64 v[116:117], v[116:117], v[132:133]
	v_fma_f64 v[130:131], v[104:105], s[26:27], -v[128:129]
	v_fmac_f64_e32 v[128:129], s[26:27], v[104:105]
	v_mul_f64 v[132:133], v[106:107], s[38:39]
	v_add_f64 v[118:119], v[118:119], v[134:135]
	v_add_f64 v[128:129], v[128:129], v[142:143]
	v_fma_f64 v[134:135], v[104:105], s[40:41], -v[132:133]
	v_fmac_f64_e32 v[132:133], s[40:41], v[104:105]
	v_mul_f64 v[142:143], v[106:107], s[54:55]
	v_add_f64 v[130:131], v[130:131], v[144:145]
	;; [unrolled: 5-line block ×3, first 2 shown]
	v_add_f64 v[142:143], v[142:143], v[150:151]
	v_fma_f64 v[148:149], v[104:105], s[20:21], -v[146:147]
	v_fmac_f64_e32 v[146:147], s[20:21], v[104:105]
	v_mul_f64 v[150:151], v[106:107], s[42:43]
	v_mul_f64 v[106:107], v[106:107], s[44:45]
	v_add_f64 v[96:97], v[96:97], -v[124:125]
	v_add_f64 v[144:145], v[144:145], v[152:153]
	v_add_f64 v[146:147], v[146:147], v[154:155]
	v_fma_f64 v[152:153], v[104:105], s[10:11], -v[150:151]
	v_fmac_f64_e32 v[150:151], s[10:11], v[104:105]
	v_fma_f64 v[154:155], v[104:105], s[14:15], -v[106:107]
	v_fmac_f64_e32 v[106:107], s[14:15], v[104:105]
	v_add_f64 v[98:99], v[126:127], v[98:99]
	v_mul_f64 v[104:105], v[96:97], s[46:47]
	v_add_f64 v[36:37], v[106:107], v[36:37]
	v_fma_f64 v[106:107], v[98:99], s[10:11], -v[104:105]
	v_fmac_f64_e32 v[104:105], s[10:11], v[98:99]
	v_add_f64 v[104:105], v[104:105], v[108:109]
	v_mul_f64 v[108:109], v[96:97], s[24:25]
	v_add_f64 v[106:107], v[106:107], v[110:111]
	;; [unrolled: 5-line block ×3, first 2 shown]
	v_fma_f64 v[118:119], v[98:99], s[40:41], -v[116:117]
	v_fmac_f64_e32 v[116:117], s[40:41], v[98:99]
	v_mul_f64 v[124:125], v[96:97], s[52:53]
	v_add_f64 v[116:117], v[116:117], v[128:129]
	v_fma_f64 v[126:127], v[98:99], s[20:21], -v[124:125]
	v_fmac_f64_e32 v[124:125], s[20:21], v[98:99]
	v_mul_f64 v[128:129], v[96:97], s[48:49]
	v_add_f64 v[118:119], v[118:119], v[130:131]
	v_add_f64 v[124:125], v[124:125], v[132:133]
	v_fma_f64 v[130:131], v[98:99], s[12:13], -v[128:129]
	v_fmac_f64_e32 v[128:129], s[12:13], v[98:99]
	v_mul_f64 v[132:133], v[96:97], s[22:23]
	v_add_f64 v[126:127], v[126:127], v[134:135]
	v_add_f64 v[128:129], v[128:129], v[142:143]
	v_fma_f64 v[134:135], v[98:99], s[14:15], -v[132:133]
	v_fmac_f64_e32 v[132:133], s[14:15], v[98:99]
	v_mul_f64 v[142:143], v[96:97], s[34:35]
	v_mul_f64 v[96:97], v[96:97], s[28:29]
	v_add_f64 v[132:133], v[132:133], v[146:147]
	v_fma_f64 v[146:147], v[98:99], s[30:31], -v[96:97]
	v_fmac_f64_e32 v[96:97], s[30:31], v[98:99]
	v_add_f64 v[92:93], v[92:93], -v[120:121]
	v_add_f64 v[36:37], v[96:97], v[36:37]
	v_add_f64 v[94:95], v[122:123], v[94:95]
	v_mul_f64 v[96:97], v[92:93], s[34:35]
	v_add_f64 v[130:131], v[130:131], v[144:145]
	v_fma_f64 v[144:145], v[98:99], s[4:5], -v[142:143]
	v_fmac_f64_e32 v[142:143], s[4:5], v[98:99]
	v_fma_f64 v[98:99], v[94:95], s[4:5], -v[96:97]
	v_fmac_f64_e32 v[96:97], s[4:5], v[94:95]
	v_add_f64 v[96:97], v[96:97], v[104:105]
	v_mul_f64 v[104:105], v[92:93], s[38:39]
	v_add_f64 v[98:99], v[98:99], v[106:107]
	v_fma_f64 v[106:107], v[94:95], s[40:41], -v[104:105]
	v_fmac_f64_e32 v[104:105], s[40:41], v[94:95]
	v_add_f64 v[104:105], v[104:105], v[108:109]
	v_mul_f64 v[108:109], v[92:93], s[52:53]
	v_add_f64 v[106:107], v[106:107], v[110:111]
	;; [unrolled: 5-line block ×3, first 2 shown]
	v_fma_f64 v[118:119], v[94:95], s[14:15], -v[116:117]
	v_fmac_f64_e32 v[116:117], s[14:15], v[94:95]
	v_mul_f64 v[120:121], v[92:93], s[46:47]
	v_add_f64 v[116:117], v[116:117], v[124:125]
	v_fma_f64 v[122:123], v[94:95], s[10:11], -v[120:121]
	v_fmac_f64_e32 v[120:121], s[10:11], v[94:95]
	v_mul_f64 v[124:125], v[92:93], s[28:29]
	v_add_f64 v[118:119], v[118:119], v[126:127]
	v_add_f64 v[120:121], v[120:121], v[128:129]
	v_fma_f64 v[126:127], v[94:95], s[30:31], -v[124:125]
	v_fmac_f64_e32 v[124:125], s[30:31], v[94:95]
	v_mul_f64 v[128:129], v[92:93], s[56:57]
	v_mul_f64 v[92:93], v[92:93], s[48:49]
	v_add_f64 v[124:125], v[124:125], v[132:133]
	v_fma_f64 v[132:133], v[94:95], s[12:13], -v[92:93]
	v_fmac_f64_e32 v[92:93], s[12:13], v[94:95]
	v_add_f64 v[84:85], v[84:85], -v[100:101]
	v_add_f64 v[36:37], v[92:93], v[36:37]
	v_add_f64 v[86:87], v[102:103], v[86:87]
	v_mul_f64 v[92:93], v[84:85], s[18:19]
	v_add_f64 v[122:123], v[122:123], v[130:131]
	v_fma_f64 v[130:131], v[94:95], s[26:27], -v[128:129]
	v_fmac_f64_e32 v[128:129], s[26:27], v[94:95]
	v_fma_f64 v[94:95], v[86:87], s[20:21], -v[92:93]
	v_fmac_f64_e32 v[92:93], s[20:21], v[86:87]
	v_add_f64 v[92:93], v[92:93], v[96:97]
	v_mul_f64 v[96:97], v[84:85], s[54:55]
	v_add_f64 v[94:95], v[94:95], v[98:99]
	v_fma_f64 v[98:99], v[86:87], s[30:31], -v[96:97]
	v_fmac_f64_e32 v[96:97], s[30:31], v[86:87]
	v_mul_f64 v[100:101], v[84:85], s[48:49]
	v_add_f64 v[96:97], v[96:97], v[104:105]
	v_fma_f64 v[102:103], v[86:87], s[12:13], -v[100:101]
	v_fmac_f64_e32 v[100:101], s[12:13], v[86:87]
	v_mul_f64 v[104:105], v[84:85], s[46:47]
	v_add_f64 v[98:99], v[98:99], v[106:107]
	v_add_f64 v[100:101], v[100:101], v[108:109]
	v_fma_f64 v[106:107], v[86:87], s[10:11], -v[104:105]
	v_fmac_f64_e32 v[104:105], s[10:11], v[86:87]
	v_mul_f64 v[108:109], v[84:85], s[38:39]
	v_add_f64 v[102:103], v[102:103], v[110:111]
	;; [unrolled: 5-line block ×3, first 2 shown]
	v_add_f64 v[108:109], v[108:109], v[120:121]
	v_fma_f64 v[118:119], v[86:87], s[4:5], -v[116:117]
	v_fmac_f64_e32 v[116:117], s[4:5], v[86:87]
	v_mul_f64 v[120:121], v[84:85], s[22:23]
	v_mul_f64 v[84:85], v[84:85], s[24:25]
	v_add_f64 v[116:117], v[116:117], v[124:125]
	v_fma_f64 v[124:125], v[86:87], s[26:27], -v[84:85]
	v_fmac_f64_e32 v[84:85], s[26:27], v[86:87]
	v_add_f64 v[72:73], v[72:73], -v[88:89]
	v_add_f64 v[36:37], v[84:85], v[36:37]
	v_add_f64 v[74:75], v[90:91], v[74:75]
	v_mul_f64 v[84:85], v[72:73], s[24:25]
	v_add_f64 v[110:111], v[110:111], v[122:123]
	v_fma_f64 v[122:123], v[86:87], s[14:15], -v[120:121]
	v_fmac_f64_e32 v[120:121], s[14:15], v[86:87]
	v_fma_f64 v[86:87], v[74:75], s[26:27], -v[84:85]
	v_fmac_f64_e32 v[84:85], s[26:27], v[74:75]
	v_mul_f64 v[88:89], v[72:73], s[52:53]
	v_add_f64 v[84:85], v[84:85], v[92:93]
	v_fma_f64 v[90:91], v[74:75], s[20:21], -v[88:89]
	v_fmac_f64_e32 v[88:89], s[20:21], v[74:75]
	v_mul_f64 v[92:93], v[72:73], s[22:23]
	v_add_f64 v[86:87], v[86:87], v[94:95]
	v_add_f64 v[88:89], v[88:89], v[96:97]
	v_fma_f64 v[94:95], v[74:75], s[14:15], -v[92:93]
	v_fmac_f64_e32 v[92:93], s[14:15], v[74:75]
	v_mul_f64 v[96:97], v[72:73], s[28:29]
	v_add_f64 v[90:91], v[90:91], v[98:99]
	v_add_f64 v[92:93], v[92:93], v[100:101]
	v_fma_f64 v[98:99], v[74:75], s[30:31], -v[96:97]
	v_fmac_f64_e32 v[96:97], s[30:31], v[74:75]
	v_mul_f64 v[100:101], v[72:73], s[50:51]
	v_add_f64 v[94:95], v[94:95], v[102:103]
	v_add_f64 v[96:97], v[96:97], v[104:105]
	v_fma_f64 v[102:103], v[74:75], s[4:5], -v[100:101]
	v_fmac_f64_e32 v[100:101], s[4:5], v[74:75]
	v_mul_f64 v[104:105], v[72:73], s[36:37]
	v_add_f64 v[98:99], v[98:99], v[106:107]
	v_add_f64 v[100:101], v[100:101], v[108:109]
	v_fma_f64 v[106:107], v[74:75], s[12:13], -v[104:105]
	v_fmac_f64_e32 v[104:105], s[12:13], v[74:75]
	v_mul_f64 v[108:109], v[72:73], s[38:39]
	v_mul_f64 v[72:73], v[72:73], s[42:43]
	v_add_f64 v[104:105], v[104:105], v[116:117]
	v_fma_f64 v[116:117], v[74:75], s[10:11], -v[72:73]
	v_fmac_f64_e32 v[72:73], s[10:11], v[74:75]
	v_add_f64 v[64:65], v[64:65], -v[76:77]
	v_add_f64 v[150:151], v[150:151], v[158:159]
	v_add_f64 v[36:37], v[72:73], v[36:37]
	v_add_f64 v[66:67], v[78:79], v[66:67]
	v_mul_f64 v[72:73], v[64:65], s[28:29]
	v_add_f64 v[56:57], v[56:57], -v[60:61]
	v_add_f64 v[148:149], v[148:149], v[156:157]
	v_add_f64 v[142:143], v[142:143], v[150:151]
	;; [unrolled: 1-line block ×3, first 2 shown]
	v_fma_f64 v[110:111], v[74:75], s[40:41], -v[108:109]
	v_fmac_f64_e32 v[108:109], s[40:41], v[74:75]
	v_fma_f64 v[74:75], v[66:67], s[30:31], -v[72:73]
	v_fmac_f64_e32 v[72:73], s[30:31], v[66:67]
	v_add_f64 v[58:59], v[62:63], v[58:59]
	v_mul_f64 v[60:61], v[56:57], s[38:39]
	v_add_f64 v[134:135], v[134:135], v[148:149]
	v_add_f64 v[128:129], v[128:129], v[142:143]
	;; [unrolled: 1-line block ×3, first 2 shown]
	v_mul_f64 v[76:77], v[64:65], s[42:43]
	v_fma_f64 v[62:63], v[58:59], s[40:41], -v[60:61]
	v_fmac_f64_e32 v[60:61], s[40:41], v[58:59]
	v_add_f64 v[152:153], v[152:153], v[160:161]
	v_add_f64 v[126:127], v[126:127], v[134:135]
	;; [unrolled: 1-line block ×4, first 2 shown]
	v_fma_f64 v[78:79], v[66:67], s[10:11], -v[76:77]
	v_fmac_f64_e32 v[76:77], s[10:11], v[66:67]
	v_add_f64 v[134:135], v[60:61], v[72:73]
	v_mul_f64 v[60:61], v[56:57], s[44:45]
	v_add_f64 v[144:145], v[144:145], v[152:153]
	v_add_f64 v[108:109], v[108:109], v[120:121]
	;; [unrolled: 1-line block ×3, first 2 shown]
	v_mul_f64 v[84:85], v[64:65], s[34:35]
	v_add_f64 v[120:121], v[62:63], v[74:75]
	v_fma_f64 v[62:63], v[58:59], s[14:15], -v[60:61]
	v_fmac_f64_e32 v[60:61], s[14:15], v[58:59]
	v_add_f64 v[130:131], v[130:131], v[144:145]
	v_add_f64 v[78:79], v[78:79], v[90:91]
	v_fma_f64 v[86:87], v[66:67], s[4:5], -v[84:85]
	v_fmac_f64_e32 v[84:85], s[4:5], v[66:67]
	v_add_f64 v[144:145], v[60:61], v[76:77]
	v_mul_f64 v[60:61], v[56:57], s[28:29]
	v_add_f64 v[154:155], v[154:155], v[162:163]
	v_add_f64 v[84:85], v[84:85], v[92:93]
	v_mul_f64 v[88:89], v[64:65], s[56:57]
	v_add_f64 v[142:143], v[62:63], v[78:79]
	v_fma_f64 v[62:63], v[58:59], s[30:31], -v[60:61]
	v_fmac_f64_e32 v[60:61], s[30:31], v[58:59]
	v_add_f64 v[146:147], v[146:147], v[154:155]
	v_add_f64 v[86:87], v[86:87], v[94:95]
	v_fma_f64 v[90:91], v[66:67], s[26:27], -v[88:89]
	v_fmac_f64_e32 v[88:89], s[26:27], v[66:67]
	v_add_f64 v[148:149], v[60:61], v[84:85]
	v_mul_f64 v[60:61], v[56:57], s[48:49]
	v_add_f64 v[132:133], v[132:133], v[146:147]
	v_add_f64 v[88:89], v[88:89], v[96:97]
	v_mul_f64 v[92:93], v[64:65], s[22:23]
	v_add_f64 v[146:147], v[62:63], v[86:87]
	v_fma_f64 v[62:63], v[58:59], s[12:13], -v[60:61]
	v_fmac_f64_e32 v[60:61], s[12:13], v[58:59]
	v_add_f64 v[90:91], v[90:91], v[98:99]
	v_fma_f64 v[94:95], v[66:67], s[14:15], -v[92:93]
	v_fmac_f64_e32 v[92:93], s[14:15], v[66:67]
	v_add_f64 v[152:153], v[60:61], v[88:89]
	v_mul_f64 v[60:61], v[56:57], s[24:25]
	v_add_f64 v[92:93], v[92:93], v[100:101]
	v_mul_f64 v[96:97], v[64:65], s[38:39]
	v_add_f64 v[150:151], v[62:63], v[90:91]
	v_fma_f64 v[62:63], v[58:59], s[26:27], -v[60:61]
	v_fmac_f64_e32 v[60:61], s[26:27], v[58:59]
	v_add_f64 v[118:119], v[118:119], v[126:127]
	v_add_f64 v[94:95], v[94:95], v[102:103]
	v_fma_f64 v[98:99], v[66:67], s[40:41], -v[96:97]
	v_fmac_f64_e32 v[96:97], s[40:41], v[66:67]
	v_add_f64 v[156:157], v[60:61], v[92:93]
	v_mul_f64 v[60:61], v[56:57], s[42:43]
	v_add_f64 v[106:107], v[106:107], v[118:119]
	v_add_f64 v[96:97], v[96:97], v[104:105]
	v_mul_f64 v[100:101], v[64:65], s[48:49]
	v_add_f64 v[154:155], v[62:63], v[94:95]
	v_fma_f64 v[62:63], v[58:59], s[10:11], -v[60:61]
	v_fmac_f64_e32 v[60:61], s[10:11], v[58:59]
	v_add_f64 v[98:99], v[98:99], v[106:107]
	v_fma_f64 v[102:103], v[66:67], s[12:13], -v[100:101]
	v_fmac_f64_e32 v[100:101], s[12:13], v[66:67]
	v_mul_f64 v[64:65], v[64:65], s[18:19]
	v_add_f64 v[160:161], v[60:61], v[96:97]
	v_mul_f64 v[60:61], v[56:57], s[18:19]
	v_add_f64 v[100:101], v[100:101], v[108:109]
	v_fma_f64 v[104:105], v[66:67], s[20:21], -v[64:65]
	v_fmac_f64_e32 v[64:65], s[20:21], v[66:67]
	v_add_f64 v[158:159], v[62:63], v[98:99]
	v_fma_f64 v[62:63], v[58:59], s[20:21], -v[60:61]
	v_fmac_f64_e32 v[60:61], s[20:21], v[58:59]
	v_mul_f64 v[56:57], v[56:57], s[50:51]
	v_add_f64 v[36:37], v[64:65], v[36:37]
	v_add_f64 v[164:165], v[60:61], v[100:101]
	v_fma_f64 v[60:61], v[58:59], s[4:5], -v[56:57]
	v_fmac_f64_e32 v[56:57], s[4:5], v[58:59]
	v_add_f64 v[122:123], v[122:123], v[130:131]
	v_add_f64 v[124:125], v[124:125], v[132:133]
	;; [unrolled: 1-line block ×3, first 2 shown]
	v_lshlrev_b32_e32 v36, 7, v184
	v_add_f64 v[110:111], v[110:111], v[122:123]
	v_add_f64 v[116:117], v[116:117], v[124:125]
	v_sub_u32_e32 v122, v185, v36
	v_add_u32_e32 v127, 0x165, v184
	v_add_f64 v[102:103], v[102:103], v[110:111]
	v_add_f64 v[104:105], v[104:105], v[116:117]
	v_add_u32_e32 v129, 0x800, v122
	v_add_u32_e32 v128, 0x1800, v122
	;; [unrolled: 1-line block ×7, first 2 shown]
	v_lshl_add_u32 v125, v127, 3, 0
	v_add_f64 v[162:163], v[62:63], v[102:103]
	v_add_f64 v[166:167], v[60:61], v[104:105]
	s_waitcnt lgkmcnt(0)
	; wave barrier
	s_waitcnt lgkmcnt(0)
	ds_read2_b64 v[72:75], v122 offset1:51
	ds_read2_b64 v[56:59], v129 offset0:152 offset1:203
	ds_read2_b64 v[108:111], v128 offset0:150 offset1:201
	;; [unrolled: 1-line block ×9, first 2 shown]
	v_lshl_add_u32 v124, v126, 3, 0
	ds_read2_b64 v[84:87], v132 offset0:200 offset1:251
	ds_read_b64 v[36:37], v125
	ds_read2_b64 v[76:79], v128 offset0:48 offset1:99
	ds_read_b64 v[116:117], v124
	ds_read_b64 v[118:119], v122 offset:10608
	v_add_u32_e32 v123, 51, v184
	s_waitcnt lgkmcnt(0)
	; wave barrier
	s_waitcnt lgkmcnt(0)
	ds_write2_b64 v185, v[140:141], v[120:121] offset1:1
	ds_write2_b64 v185, v[142:143], v[146:147] offset0:2 offset1:3
	ds_write2_b64 v185, v[150:151], v[154:155] offset0:4 offset1:5
	;; [unrolled: 1-line block ×7, first 2 shown]
	ds_write_b64 v185, v[134:135] offset:128
	s_and_saveexec_b64 s[4:5], s[0:1]
	s_cbranch_execz .LBB0_19
; %bb.18:
	v_add_f64 v[120:121], v[54:55], v[38:39]
	v_add_f64 v[120:121], v[42:43], v[120:121]
	;; [unrolled: 1-line block ×13, first 2 shown]
	s_mov_b32 s34, 0x2a9d6da3
	s_mov_b32 s44, 0x7c9e640b
	s_mov_b32 s36, 0xeb564b22
	v_add_f64 v[120:121], v[70:71], v[120:121]
	v_add_f64 v[52:53], v[52:53], -v[112:113]
	s_mov_b32 s35, 0xbfe58eea
	s_mov_b32 s45, 0xbfeca52d
	;; [unrolled: 1-line block ×4, first 2 shown]
	v_add_f64 v[120:121], v[82:83], v[120:121]
	v_add_f64 v[54:55], v[114:115], v[54:55]
	v_mul_f64 v[112:113], v[52:53], s[22:23]
	v_mul_f64 v[134:135], v[52:53], s[34:35]
	;; [unrolled: 1-line block ×4, first 2 shown]
	s_mov_b32 s1, 0x3fb79ee6
	v_mul_f64 v[150:151], v[52:53], s[18:19]
	v_mul_f64 v[154:155], v[52:53], s[24:25]
	;; [unrolled: 1-line block ×4, first 2 shown]
	v_add_f64 v[120:121], v[114:115], v[120:121]
	v_fma_f64 v[114:115], v[54:55], s[14:15], -v[112:113]
	v_fmac_f64_e32 v[112:113], s[14:15], v[54:55]
	v_fma_f64 v[140:141], v[54:55], s[12:13], -v[134:135]
	v_fmac_f64_e32 v[134:135], s[12:13], v[54:55]
	;; [unrolled: 2-line block ×8, first 2 shown]
	v_add_f64 v[40:41], v[40:41], -v[80:81]
	v_add_f64 v[114:115], v[38:39], v[114:115]
	v_add_f64 v[112:113], v[38:39], v[112:113]
	;; [unrolled: 1-line block ×17, first 2 shown]
	v_mul_f64 v[52:53], v[40:41], s[34:35]
	v_fma_f64 v[54:55], v[42:43], s[12:13], -v[52:53]
	v_fmac_f64_e32 v[52:53], s[12:13], v[42:43]
	v_mul_f64 v[80:81], v[40:41], s[36:37]
	v_add_f64 v[52:53], v[52:53], v[112:113]
	v_fma_f64 v[82:83], v[42:43], s[0:1], -v[80:81]
	v_fmac_f64_e32 v[80:81], s[0:1], v[42:43]
	v_mul_f64 v[112:113], v[40:41], s[24:25]
	v_add_f64 v[54:55], v[54:55], v[114:115]
	v_add_f64 v[80:81], v[80:81], v[134:135]
	v_fma_f64 v[114:115], v[42:43], s[26:27], -v[112:113]
	v_fmac_f64_e32 v[112:113], s[26:27], v[42:43]
	v_mul_f64 v[134:135], v[40:41], s[38:39]
	s_mov_b32 s53, 0x3fe0d888
	s_mov_b32 s52, s28
	v_add_f64 v[82:83], v[82:83], v[140:141]
	v_add_f64 v[112:113], v[112:113], v[142:143]
	v_fma_f64 v[140:141], v[42:43], s[40:41], -v[134:135]
	v_fmac_f64_e32 v[134:135], s[40:41], v[42:43]
	v_mul_f64 v[142:143], v[40:41], s[52:53]
	s_mov_b32 s51, 0x3feec746
	s_mov_b32 s50, s18
	;; [unrolled: 7-line block ×3, first 2 shown]
	s_mov_b32 s46, s22
	v_add_f64 v[140:141], v[140:141], v[148:149]
	v_add_f64 v[142:143], v[142:143], v[150:151]
	v_fma_f64 v[148:149], v[42:43], s[20:21], -v[146:147]
	v_fmac_f64_e32 v[146:147], s[20:21], v[42:43]
	v_mul_f64 v[150:151], v[40:41], s[42:43]
	v_mul_f64 v[40:41], v[40:41], s[46:47]
	v_add_f64 v[146:147], v[146:147], v[154:155]
	v_fma_f64 v[154:155], v[42:43], s[14:15], -v[40:41]
	v_fmac_f64_e32 v[40:41], s[14:15], v[42:43]
	v_add_f64 v[28:29], v[28:29], -v[68:69]
	v_add_f64 v[38:39], v[40:41], v[38:39]
	v_add_f64 v[30:31], v[70:71], v[30:31]
	v_mul_f64 v[40:41], v[28:29], s[44:45]
	v_add_f64 v[144:145], v[144:145], v[152:153]
	v_fma_f64 v[152:153], v[42:43], s[10:11], -v[150:151]
	v_fmac_f64_e32 v[150:151], s[10:11], v[42:43]
	v_fma_f64 v[42:43], v[30:31], s[10:11], -v[40:41]
	v_fmac_f64_e32 v[40:41], s[10:11], v[30:31]
	v_add_f64 v[40:41], v[40:41], v[52:53]
	v_mul_f64 v[52:53], v[28:29], s[24:25]
	s_mov_b32 s49, 0x3fc7851a
	s_mov_b32 s48, s38
	v_add_f64 v[42:43], v[42:43], v[54:55]
	v_fma_f64 v[54:55], v[30:31], s[26:27], -v[52:53]
	v_fmac_f64_e32 v[52:53], s[26:27], v[30:31]
	v_mul_f64 v[68:69], v[28:29], s[48:49]
	v_add_f64 v[52:53], v[52:53], v[80:81]
	v_fma_f64 v[70:71], v[30:31], s[40:41], -v[68:69]
	v_fmac_f64_e32 v[68:69], s[40:41], v[30:31]
	v_mul_f64 v[80:81], v[28:29], s[50:51]
	s_mov_b32 s49, 0x3fe58eea
	s_mov_b32 s48, s34
	v_add_f64 v[54:55], v[54:55], v[82:83]
	v_add_f64 v[68:69], v[68:69], v[112:113]
	v_fma_f64 v[82:83], v[30:31], s[20:21], -v[80:81]
	v_fmac_f64_e32 v[80:81], s[20:21], v[30:31]
	v_mul_f64 v[112:113], v[28:29], s[48:49]
	v_add_f64 v[70:71], v[70:71], v[114:115]
	v_add_f64 v[80:81], v[80:81], v[134:135]
	v_fma_f64 v[114:115], v[30:31], s[12:13], -v[112:113]
	v_fmac_f64_e32 v[112:113], s[12:13], v[30:31]
	v_mul_f64 v[134:135], v[28:29], s[22:23]
	;; [unrolled: 5-line block ×3, first 2 shown]
	v_mul_f64 v[28:29], v[28:29], s[28:29]
	v_add_f64 v[24:25], v[24:25], -v[48:49]
	v_add_f64 v[114:115], v[114:115], v[144:145]
	v_add_f64 v[134:135], v[134:135], v[146:147]
	v_fma_f64 v[144:145], v[30:31], s[0:1], -v[142:143]
	v_fmac_f64_e32 v[142:143], s[0:1], v[30:31]
	v_fma_f64 v[146:147], v[30:31], s[30:31], -v[28:29]
	v_fmac_f64_e32 v[28:29], s[30:31], v[30:31]
	v_add_f64 v[26:27], v[50:51], v[26:27]
	v_mul_f64 v[30:31], v[24:25], s[36:37]
	v_add_f64 v[28:29], v[28:29], v[38:39]
	v_fma_f64 v[38:39], v[26:27], s[0:1], -v[30:31]
	v_fmac_f64_e32 v[30:31], s[0:1], v[26:27]
	v_add_f64 v[30:31], v[30:31], v[40:41]
	v_mul_f64 v[40:41], v[24:25], s[38:39]
	v_add_f64 v[38:39], v[38:39], v[42:43]
	v_fma_f64 v[42:43], v[26:27], s[40:41], -v[40:41]
	v_fmac_f64_e32 v[40:41], s[40:41], v[26:27]
	v_mul_f64 v[48:49], v[24:25], s[50:51]
	v_add_f64 v[40:41], v[40:41], v[52:53]
	v_fma_f64 v[50:51], v[26:27], s[20:21], -v[48:49]
	v_fmac_f64_e32 v[48:49], s[20:21], v[26:27]
	v_mul_f64 v[52:53], v[24:25], s[46:47]
	v_add_f64 v[42:43], v[42:43], v[54:55]
	v_add_f64 v[48:49], v[48:49], v[68:69]
	v_fma_f64 v[54:55], v[26:27], s[14:15], -v[52:53]
	v_fmac_f64_e32 v[52:53], s[14:15], v[26:27]
	v_mul_f64 v[68:69], v[24:25], s[44:45]
	v_add_f64 v[50:51], v[50:51], v[70:71]
	v_add_f64 v[52:53], v[52:53], v[80:81]
	v_fma_f64 v[70:71], v[26:27], s[10:11], -v[68:69]
	v_fmac_f64_e32 v[68:69], s[10:11], v[26:27]
	v_mul_f64 v[80:81], v[24:25], s[28:29]
	s_mov_b32 s55, 0x3fe9895b
	s_mov_b32 s54, s24
	v_add_f64 v[54:55], v[54:55], v[82:83]
	v_add_f64 v[68:69], v[68:69], v[112:113]
	v_fma_f64 v[82:83], v[26:27], s[30:31], -v[80:81]
	v_fmac_f64_e32 v[80:81], s[30:31], v[26:27]
	v_mul_f64 v[112:113], v[24:25], s[54:55]
	v_mul_f64 v[24:25], v[24:25], s[48:49]
	v_add_f64 v[16:17], v[16:17], -v[44:45]
	v_add_f64 v[70:71], v[70:71], v[114:115]
	v_add_f64 v[80:81], v[80:81], v[134:135]
	v_fma_f64 v[114:115], v[26:27], s[26:27], -v[112:113]
	v_fmac_f64_e32 v[112:113], s[26:27], v[26:27]
	v_fma_f64 v[134:135], v[26:27], s[12:13], -v[24:25]
	v_fmac_f64_e32 v[24:25], s[12:13], v[26:27]
	v_add_f64 v[18:19], v[46:47], v[18:19]
	v_mul_f64 v[26:27], v[16:17], s[18:19]
	v_add_f64 v[24:25], v[24:25], v[28:29]
	v_fma_f64 v[28:29], v[18:19], s[20:21], -v[26:27]
	v_fmac_f64_e32 v[26:27], s[20:21], v[18:19]
	v_add_f64 v[26:27], v[26:27], v[30:31]
	v_mul_f64 v[30:31], v[16:17], s[52:53]
	v_add_f64 v[28:29], v[28:29], v[38:39]
	;; [unrolled: 5-line block ×3, first 2 shown]
	v_fma_f64 v[42:43], v[18:19], s[12:13], -v[40:41]
	v_fmac_f64_e32 v[40:41], s[12:13], v[18:19]
	v_mul_f64 v[44:45], v[16:17], s[44:45]
	v_add_f64 v[40:41], v[40:41], v[48:49]
	v_fma_f64 v[46:47], v[18:19], s[10:11], -v[44:45]
	v_fmac_f64_e32 v[44:45], s[10:11], v[18:19]
	v_mul_f64 v[48:49], v[16:17], s[38:39]
	s_mov_b32 s45, 0x3fefdd0d
	s_mov_b32 s44, s36
	v_add_f64 v[42:43], v[42:43], v[50:51]
	v_add_f64 v[44:45], v[44:45], v[52:53]
	v_fma_f64 v[50:51], v[18:19], s[40:41], -v[48:49]
	v_fmac_f64_e32 v[48:49], s[40:41], v[18:19]
	v_mul_f64 v[52:53], v[16:17], s[44:45]
	v_add_f64 v[46:47], v[46:47], v[54:55]
	v_add_f64 v[48:49], v[48:49], v[68:69]
	v_fma_f64 v[54:55], v[18:19], s[0:1], -v[52:53]
	v_fmac_f64_e32 v[52:53], s[0:1], v[18:19]
	v_mul_f64 v[68:69], v[16:17], s[22:23]
	v_mul_f64 v[16:17], v[16:17], s[24:25]
	v_add_f64 v[12:13], v[12:13], -v[32:33]
	v_add_f64 v[50:51], v[50:51], v[70:71]
	v_add_f64 v[52:53], v[52:53], v[80:81]
	v_fma_f64 v[70:71], v[18:19], s[14:15], -v[68:69]
	v_fmac_f64_e32 v[68:69], s[14:15], v[18:19]
	v_fma_f64 v[80:81], v[18:19], s[26:27], -v[16:17]
	v_fmac_f64_e32 v[16:17], s[26:27], v[18:19]
	v_add_f64 v[14:15], v[34:35], v[14:15]
	v_mul_f64 v[18:19], v[12:13], s[24:25]
	v_add_f64 v[16:17], v[16:17], v[24:25]
	v_fma_f64 v[24:25], v[14:15], s[26:27], -v[18:19]
	v_fmac_f64_e32 v[18:19], s[26:27], v[14:15]
	v_add_f64 v[18:19], v[18:19], v[26:27]
	v_mul_f64 v[26:27], v[12:13], s[50:51]
	v_add_f64 v[24:25], v[24:25], v[28:29]
	v_fma_f64 v[28:29], v[14:15], s[20:21], -v[26:27]
	v_fmac_f64_e32 v[26:27], s[20:21], v[14:15]
	v_add_f64 v[26:27], v[26:27], v[30:31]
	v_mul_f64 v[30:31], v[12:13], s[22:23]
	v_fma_f64 v[32:33], v[14:15], s[14:15], -v[30:31]
	v_fmac_f64_e32 v[30:31], s[14:15], v[14:15]
	v_mul_f64 v[34:35], v[12:13], s[28:29]
	v_add_f64 v[28:29], v[28:29], v[38:39]
	v_add_f64 v[30:31], v[30:31], v[40:41]
	v_fma_f64 v[38:39], v[14:15], s[30:31], -v[34:35]
	v_fmac_f64_e32 v[34:35], s[30:31], v[14:15]
	v_mul_f64 v[40:41], v[12:13], s[44:45]
	v_add_f64 v[32:33], v[32:33], v[42:43]
	v_add_f64 v[34:35], v[34:35], v[44:45]
	v_fma_f64 v[42:43], v[14:15], s[0:1], -v[40:41]
	v_fmac_f64_e32 v[40:41], s[0:1], v[14:15]
	v_mul_f64 v[44:45], v[12:13], s[34:35]
	v_add_f64 v[38:39], v[38:39], v[46:47]
	v_add_f64 v[40:41], v[40:41], v[48:49]
	v_fma_f64 v[46:47], v[14:15], s[12:13], -v[44:45]
	v_fmac_f64_e32 v[44:45], s[12:13], v[14:15]
	v_mul_f64 v[48:49], v[12:13], s[38:39]
	v_mul_f64 v[12:13], v[12:13], s[42:43]
	v_add_f64 v[8:9], v[8:9], -v[20:21]
	v_add_f64 v[42:43], v[42:43], v[50:51]
	v_add_f64 v[44:45], v[44:45], v[52:53]
	v_fma_f64 v[50:51], v[14:15], s[40:41], -v[48:49]
	v_fmac_f64_e32 v[48:49], s[40:41], v[14:15]
	v_fma_f64 v[52:53], v[14:15], s[10:11], -v[12:13]
	v_fmac_f64_e32 v[12:13], s[10:11], v[14:15]
	v_add_f64 v[10:11], v[22:23], v[10:11]
	v_mul_f64 v[14:15], v[8:9], s[28:29]
	v_add_f64 v[12:13], v[12:13], v[16:17]
	v_fma_f64 v[16:17], v[10:11], s[30:31], -v[14:15]
	v_fmac_f64_e32 v[14:15], s[30:31], v[10:11]
	v_add_f64 v[14:15], v[14:15], v[18:19]
	v_mul_f64 v[18:19], v[8:9], s[42:43]
	v_fma_f64 v[20:21], v[10:11], s[10:11], -v[18:19]
	v_fmac_f64_e32 v[18:19], s[10:11], v[10:11]
	v_mul_f64 v[22:23], v[8:9], s[36:37]
	v_add_f64 v[16:17], v[16:17], v[24:25]
	v_add_f64 v[18:19], v[18:19], v[26:27]
	v_fma_f64 v[24:25], v[10:11], s[0:1], -v[22:23]
	v_fmac_f64_e32 v[22:23], s[0:1], v[10:11]
	v_mul_f64 v[26:27], v[8:9], s[54:55]
	v_add_f64 v[20:21], v[20:21], v[28:29]
	v_add_f64 v[22:23], v[22:23], v[30:31]
	;; [unrolled: 5-line block ×3, first 2 shown]
	v_fma_f64 v[32:33], v[10:11], s[14:15], -v[30:31]
	v_fmac_f64_e32 v[30:31], s[14:15], v[10:11]
	v_mul_f64 v[34:35], v[8:9], s[38:39]
	v_add_f64 v[0:1], v[0:1], -v[4:5]
	v_add_f64 v[28:29], v[28:29], v[38:39]
	v_add_f64 v[30:31], v[30:31], v[40:41]
	v_fma_f64 v[38:39], v[10:11], s[40:41], -v[34:35]
	v_fmac_f64_e32 v[34:35], s[40:41], v[10:11]
	v_mul_f64 v[40:41], v[8:9], s[48:49]
	v_mul_f64 v[8:9], v[8:9], s[18:19]
	v_add_f64 v[2:3], v[6:7], v[2:3]
	v_mul_f64 v[4:5], v[0:1], s[38:39]
	v_add_f64 v[32:33], v[32:33], v[42:43]
	v_add_f64 v[34:35], v[34:35], v[44:45]
	v_fma_f64 v[42:43], v[10:11], s[12:13], -v[40:41]
	v_fmac_f64_e32 v[40:41], s[12:13], v[10:11]
	v_fma_f64 v[44:45], v[10:11], s[20:21], -v[8:9]
	v_fmac_f64_e32 v[8:9], s[20:21], v[10:11]
	;; [unrolled: 2-line block ×3, first 2 shown]
	v_mul_f64 v[10:11], v[0:1], s[46:47]
	v_add_f64 v[8:9], v[8:9], v[12:13]
	v_add_f64 v[4:5], v[4:5], v[14:15]
	v_fma_f64 v[12:13], v[2:3], s[14:15], -v[10:11]
	v_fmac_f64_e32 v[10:11], s[14:15], v[2:3]
	v_mul_f64 v[14:15], v[0:1], s[28:29]
	v_add_f64 v[148:149], v[148:149], v[156:157]
	v_add_f64 v[152:153], v[152:153], v[160:161]
	v_add_f64 v[150:151], v[150:151], v[158:159]
	v_add_f64 v[154:155], v[154:155], v[162:163]
	v_add_f64 v[6:7], v[6:7], v[16:17]
	v_add_f64 v[10:11], v[10:11], v[18:19]
	v_fma_f64 v[16:17], v[2:3], s[30:31], -v[14:15]
	v_fmac_f64_e32 v[14:15], s[30:31], v[2:3]
	v_mul_f64 v[18:19], v[0:1], s[48:49]
	v_add_f64 v[140:141], v[140:141], v[148:149]
	v_add_f64 v[144:145], v[144:145], v[152:153]
	v_add_f64 v[142:143], v[142:143], v[150:151]
	v_add_f64 v[146:147], v[146:147], v[154:155]
	;; [unrolled: 9-line block ×4, first 2 shown]
	v_add_f64 v[20:21], v[20:21], v[28:29]
	v_add_f64 v[22:23], v[22:23], v[30:31]
	v_fma_f64 v[28:29], v[2:3], s[10:11], -v[26:27]
	v_fmac_f64_e32 v[26:27], s[10:11], v[2:3]
	v_mul_f64 v[30:31], v[0:1], s[18:19]
	v_mul_f64 v[0:1], v[0:1], s[44:45]
	v_add_f64 v[46:47], v[46:47], v[54:55]
	v_add_f64 v[50:51], v[50:51], v[70:71]
	;; [unrolled: 1-line block ×5, first 2 shown]
	v_fma_f64 v[34:35], v[2:3], s[0:1], -v[0:1]
	v_fmac_f64_e32 v[0:1], s[0:1], v[2:3]
	s_movk_i32 s0, 0x88
	v_add_f64 v[38:39], v[38:39], v[46:47]
	v_add_f64 v[42:43], v[42:43], v[50:51]
	;; [unrolled: 1-line block ×5, first 2 shown]
	v_fma_f64 v[32:33], v[2:3], s[20:21], -v[30:31]
	v_fmac_f64_e32 v[30:31], s[20:21], v[2:3]
	v_mad_u32_u24 v2, v123, s0, 0
	v_add_f64 v[28:29], v[28:29], v[38:39]
	v_add_f64 v[32:33], v[32:33], v[42:43]
	;; [unrolled: 1-line block ×5, first 2 shown]
	ds_write2_b64 v2, v[120:121], v[6:7] offset1:1
	ds_write2_b64 v2, v[12:13], v[16:17] offset0:2 offset1:3
	ds_write2_b64 v2, v[20:21], v[24:25] offset0:4 offset1:5
	;; [unrolled: 1-line block ×7, first 2 shown]
	ds_write_b64 v2, v[4:5] offset:128
.LBB0_19:
	s_or_b64 exec, exec, s[4:5]
	s_movk_i32 s0, 0xf1
	v_mul_lo_u16_sdwa v0, v184, s0 dst_sel:DWORD dst_unused:UNUSED_PAD src0_sel:BYTE_0 src1_sel:DWORD
	v_lshrrev_b16_e32 v8, 12, v0
	v_mul_lo_u16_e32 v0, 17, v8
	v_sub_u16_e32 v9, v184, v0
	v_mov_b32_e32 v4, 5
	v_lshlrev_b32_sdwa v5, v4, v9 dst_sel:DWORD dst_unused:UNUSED_PAD src0_sel:DWORD src1_sel:BYTE_0
	s_waitcnt lgkmcnt(0)
	; wave barrier
	s_waitcnt lgkmcnt(0)
	global_load_dwordx4 v[14:17], v5, s[8:9]
	global_load_dwordx4 v[0:3], v5, s[8:9] offset:16
	v_mul_lo_u16_sdwa v5, v123, s0 dst_sel:DWORD dst_unused:UNUSED_PAD src0_sel:BYTE_0 src1_sel:DWORD
	v_lshrrev_b16_e32 v26, 12, v5
	v_mul_lo_u16_e32 v5, 17, v26
	v_sub_u16_e32 v27, v123, v5
	v_lshlrev_b32_sdwa v5, v4, v27 dst_sel:DWORD dst_unused:UNUSED_PAD src0_sel:DWORD src1_sel:BYTE_0
	v_add_u32_e32 v120, 0x66, v184
	global_load_dwordx4 v[18:21], v5, s[8:9] offset:16
	global_load_dwordx4 v[22:25], v5, s[8:9]
	v_mul_lo_u16_sdwa v5, v120, s0 dst_sel:DWORD dst_unused:UNUSED_PAD src0_sel:BYTE_0 src1_sel:DWORD
	v_lshrrev_b16_e32 v141, 12, v5
	v_mul_lo_u16_e32 v5, 17, v141
	v_sub_u16_e32 v185, v120, v5
	v_lshlrev_b32_sdwa v5, v4, v185 dst_sel:DWORD dst_unused:UNUSED_PAD src0_sel:DWORD src1_sel:BYTE_0
	v_add_u32_e32 v121, 0x99, v184
	global_load_dwordx4 v[28:31], v5, s[8:9] offset:16
	global_load_dwordx4 v[32:35], v5, s[8:9]
	;; [unrolled: 8-line block ×3, first 2 shown]
	v_mul_lo_u16_sdwa v5, v134, s0 dst_sel:DWORD dst_unused:UNUSED_PAD src0_sel:BYTE_0 src1_sel:DWORD
	v_lshrrev_b16_e32 v212, 12, v5
	v_mul_lo_u16_e32 v5, 17, v212
	v_sub_u16_e32 v213, v134, v5
	v_lshlrev_b32_sdwa v4, v4, v213 dst_sel:DWORD dst_unused:UNUSED_PAD src0_sel:DWORD src1_sel:BYTE_0
	v_add_u32_e32 v135, 0xff, v184
	s_mov_b32 s0, 0xf0f1
	global_load_dwordx4 v[46:49], v4, s[8:9] offset:16
	global_load_dwordx4 v[50:53], v4, s[8:9]
	v_mul_u32_u24_sdwa v4, v135, s0 dst_sel:DWORD dst_unused:UNUSED_PAD src0_sel:WORD_0 src1_sel:DWORD
	v_lshrrev_b32_e32 v214, 20, v4
	v_mul_lo_u16_e32 v4, 17, v214
	v_sub_u16_e32 v215, v135, v4
	v_lshlrev_b32_e32 v4, 5, v215
	global_load_dwordx4 v[142:145], v4, s[8:9]
	global_load_dwordx4 v[146:149], v4, s[8:9] offset:16
	v_mul_u32_u24_sdwa v4, v126, s0 dst_sel:DWORD dst_unused:UNUSED_PAD src0_sel:WORD_0 src1_sel:DWORD
	v_lshrrev_b32_e32 v216, 20, v4
	v_mul_lo_u16_e32 v4, 17, v216
	v_sub_u16_e32 v217, v126, v4
	v_lshlrev_b32_e32 v4, 5, v217
	global_load_dwordx4 v[150:153], v4, s[8:9] offset:16
	global_load_dwordx4 v[154:157], v4, s[8:9]
	v_mul_u32_u24_sdwa v4, v127, s0 dst_sel:DWORD dst_unused:UNUSED_PAD src0_sel:WORD_0 src1_sel:DWORD
	v_lshrrev_b32_e32 v218, 20, v4
	v_mul_lo_u16_e32 v4, 17, v218
	v_sub_u16_e32 v219, v127, v4
	v_lshlrev_b32_e32 v4, 5, v219
	v_add_u32_e32 v140, 0x198, v184
	global_load_dwordx4 v[158:161], v4, s[8:9] offset:16
	global_load_dwordx4 v[162:165], v4, s[8:9]
	v_mul_u32_u24_sdwa v4, v140, s0 dst_sel:DWORD dst_unused:UNUSED_PAD src0_sel:WORD_0 src1_sel:DWORD
	v_lshrrev_b32_e32 v220, 20, v4
	v_mul_lo_u16_e32 v4, 17, v220
	v_sub_u16_e32 v221, v140, v4
	v_lshlrev_b32_e32 v4, 5, v221
	global_load_dwordx4 v[166:169], v4, s[8:9] offset:16
	global_load_dwordx4 v[170:173], v4, s[8:9]
	ds_read2_b64 v[68:71], v122 offset1:51
	ds_read2_b64 v[4:7], v129 offset0:152 offset1:203
	ds_read2_b64 v[174:177], v128 offset0:150 offset1:201
	;; [unrolled: 1-line block ×10, first 2 shown]
	ds_read_b64 v[112:113], v125
	ds_read2_b64 v[206:209], v128 offset0:48 offset1:99
	ds_read_b64 v[114:115], v124
	ds_read_b64 v[54:55], v122 offset:10608
	s_mov_b32 s0, 0xe8584caa
	s_mov_b32 s1, 0xbfebb67a
	;; [unrolled: 1-line block ×4, first 2 shown]
	v_mul_u32_u24_e32 v8, 0x198, v8
	s_waitcnt lgkmcnt(0)
	; wave barrier
	s_waitcnt lgkmcnt(0)
	s_mov_b32 s11, 0x5040100
	s_movk_i32 s10, 0x198
	s_mov_b32 s28, 0x523c161c
	s_mov_b32 s14, 0xa2cf5039
	;; [unrolled: 1-line block ×14, first 2 shown]
	s_waitcnt vmcnt(17)
	v_mul_f64 v[182:183], v[6:7], v[16:17]
	v_mul_f64 v[16:17], v[58:59], v[16:17]
	v_fmac_f64_e32 v[182:183], v[58:59], v[14:15]
	v_fma_f64 v[6:7], v[6:7], v[14:15], -v[16:17]
	s_waitcnt vmcnt(16)
	v_mul_f64 v[14:15], v[174:175], v[2:3]
	v_mul_f64 v[2:3], v[108:109], v[2:3]
	v_fmac_f64_e32 v[14:15], v[108:109], v[0:1]
	v_fma_f64 v[0:1], v[174:175], v[0:1], -v[2:3]
	;; [unrolled: 5-line block ×3, first 2 shown]
	v_mul_f64 v[22:23], v[176:177], v[20:21]
	v_mul_f64 v[20:21], v[110:111], v[20:21]
	v_fmac_f64_e32 v[22:23], v[110:111], v[18:19]
	v_fma_f64 v[18:19], v[176:177], v[18:19], -v[20:21]
	s_waitcnt vmcnt(12)
	v_mul_f64 v[20:21], v[180:181], v[34:35]
	v_mul_f64 v[24:25], v[106:107], v[34:35]
	v_fmac_f64_e32 v[20:21], v[106:107], v[32:33]
	v_fma_f64 v[24:25], v[180:181], v[32:33], -v[24:25]
	v_mul_f64 v[32:33], v[186:187], v[30:31]
	v_mul_f64 v[30:31], v[100:101], v[30:31]
	v_fmac_f64_e32 v[32:33], v[100:101], v[28:29]
	v_fma_f64 v[28:29], v[186:187], v[28:29], -v[30:31]
	s_waitcnt vmcnt(10)
	v_mul_f64 v[30:31], v[190:191], v[44:45]
	v_mul_f64 v[34:35], v[96:97], v[44:45]
	v_fmac_f64_e32 v[30:31], v[96:97], v[42:43]
	v_fma_f64 v[34:35], v[190:191], v[42:43], -v[34:35]
	v_mul_f64 v[42:43], v[188:189], v[40:41]
	v_add_f64 v[106:107], v[182:183], v[14:15]
	v_fmac_f64_e32 v[42:43], v[102:103], v[38:39]
	v_mul_f64 v[40:41], v[102:103], v[40:41]
	v_fma_f64 v[38:39], v[188:189], v[38:39], -v[40:41]
	s_waitcnt vmcnt(8)
	v_mul_f64 v[40:41], v[192:193], v[52:53]
	v_mul_f64 v[44:45], v[98:99], v[52:53]
	v_fmac_f64_e32 v[40:41], v[98:99], v[50:51]
	v_fma_f64 v[44:45], v[192:193], v[50:51], -v[44:45]
	v_mul_f64 v[50:51], v[194:195], v[48:49]
	v_mul_f64 v[48:49], v[92:93], v[48:49]
	v_fmac_f64_e32 v[50:51], v[92:93], v[46:47]
	v_fma_f64 v[46:47], v[194:195], v[46:47], -v[48:49]
	s_waitcnt vmcnt(7)
	v_mul_f64 v[48:49], v[198:199], v[144:145]
	v_mul_f64 v[52:53], v[88:89], v[144:145]
	v_fmac_f64_e32 v[48:49], v[88:89], v[142:143]
	v_fma_f64 v[52:53], v[198:199], v[142:143], -v[52:53]
	s_waitcnt vmcnt(6)
	;; [unrolled: 5-line block ×3, first 2 shown]
	v_mul_f64 v[94:95], v[202:203], v[152:153]
	v_fmac_f64_e32 v[94:95], v[84:85], v[150:151]
	v_mul_f64 v[84:85], v[84:85], v[152:153]
	v_fma_f64 v[84:85], v[202:203], v[150:151], -v[84:85]
	s_waitcnt vmcnt(4)
	v_mul_f64 v[92:93], v[200:201], v[156:157]
	s_waitcnt vmcnt(1)
	v_mul_f64 v[104:105], v[118:119], v[168:169]
	v_mul_f64 v[102:103], v[54:55], v[168:169]
	v_fma_f64 v[54:55], v[54:55], v[166:167], -v[104:105]
	v_add_f64 v[104:105], v[72:73], v[182:183]
	v_fma_f64 v[72:73], -0.5, v[106:107], v[72:73]
	v_add_f64 v[106:107], v[6:7], -v[0:1]
	v_fma_f64 v[108:109], s[0:1], v[106:107], v[72:73]
	v_fmac_f64_e32 v[72:73], s[4:5], v[106:107]
	v_add_f64 v[106:107], v[68:69], v[6:7]
	v_add_f64 v[106:107], v[106:107], v[0:1]
	;; [unrolled: 1-line block ×3, first 2 shown]
	v_fma_f64 v[6:7], -0.5, v[0:1], v[68:69]
	v_add_f64 v[0:1], v[182:183], -v[14:15]
	v_add_f64 v[68:69], v[2:3], v[22:23]
	v_add_f64 v[104:105], v[104:105], v[14:15]
	v_fma_f64 v[14:15], s[4:5], v[0:1], v[6:7]
	v_fmac_f64_e32 v[6:7], s[0:1], v[0:1]
	v_add_f64 v[0:1], v[74:75], v[2:3]
	v_fmac_f64_e32 v[74:75], -0.5, v[68:69]
	v_add_f64 v[68:69], v[16:17], -v[18:19]
	v_fma_f64 v[110:111], s[0:1], v[68:69], v[74:75]
	v_fmac_f64_e32 v[74:75], s[4:5], v[68:69]
	v_add_f64 v[68:69], v[70:71], v[16:17]
	v_add_f64 v[16:17], v[16:17], v[18:19]
	v_fmac_f64_e32 v[70:71], -0.5, v[16:17]
	v_add_f64 v[16:17], v[20:21], v[32:33]
	v_add_f64 v[68:69], v[68:69], v[18:19]
	v_fma_f64 v[16:17], -0.5, v[16:17], v[64:65]
	v_add_f64 v[18:19], v[24:25], -v[28:29]
	v_add_f64 v[0:1], v[0:1], v[22:23]
	v_add_f64 v[2:3], v[2:3], -v[22:23]
	v_fma_f64 v[22:23], s[0:1], v[18:19], v[16:17]
	v_fmac_f64_e32 v[16:17], s[4:5], v[18:19]
	v_add_f64 v[18:19], v[80:81], v[24:25]
	v_fmac_f64_e32 v[102:103], v[118:119], v[166:167]
	v_fma_f64 v[118:119], s[4:5], v[2:3], v[70:71]
	v_fmac_f64_e32 v[70:71], s[0:1], v[2:3]
	v_add_f64 v[2:3], v[64:65], v[20:21]
	v_add_f64 v[64:65], v[18:19], v[28:29]
	;; [unrolled: 1-line block ×3, first 2 shown]
	v_fma_f64 v[80:81], -0.5, v[18:19], v[80:81]
	v_add_f64 v[18:19], v[20:21], -v[32:33]
	v_add_f64 v[20:21], v[30:31], v[42:43]
	v_fma_f64 v[142:143], s[4:5], v[18:19], v[80:81]
	v_fmac_f64_e32 v[80:81], s[0:1], v[18:19]
	v_add_f64 v[18:19], v[66:67], v[30:31]
	v_fmac_f64_e32 v[66:67], -0.5, v[20:21]
	v_add_f64 v[20:21], v[34:35], -v[38:39]
	v_fma_f64 v[24:25], s[0:1], v[20:21], v[66:67]
	v_fmac_f64_e32 v[66:67], s[4:5], v[20:21]
	v_add_f64 v[20:21], v[82:83], v[34:35]
	v_add_f64 v[144:145], v[20:21], v[38:39]
	v_add_f64 v[20:21], v[34:35], v[38:39]
	v_add_f64 v[28:29], v[40:41], v[50:51]
	v_fmac_f64_e32 v[82:83], -0.5, v[20:21]
	v_add_f64 v[20:21], v[30:31], -v[42:43]
	v_fma_f64 v[28:29], -0.5, v[28:29], v[60:61]
	v_add_f64 v[30:31], v[44:45], -v[46:47]
	v_add_f64 v[2:3], v[2:3], v[32:33]
	v_fma_f64 v[32:33], s[0:1], v[30:31], v[28:29]
	v_fmac_f64_e32 v[28:29], s[4:5], v[30:31]
	v_add_f64 v[30:31], v[10:11], v[44:45]
	v_fma_f64 v[146:147], s[4:5], v[20:21], v[82:83]
	v_fmac_f64_e32 v[82:83], s[0:1], v[20:21]
	v_add_f64 v[20:21], v[60:61], v[40:41]
	v_add_f64 v[60:61], v[30:31], v[46:47]
	;; [unrolled: 1-line block ×3, first 2 shown]
	v_fma_f64 v[148:149], -0.5, v[30:31], v[10:11]
	v_add_f64 v[10:11], v[40:41], -v[50:51]
	v_add_f64 v[30:31], v[48:49], v[58:59]
	v_fma_f64 v[150:151], s[4:5], v[10:11], v[148:149]
	v_fmac_f64_e32 v[148:149], s[0:1], v[10:11]
	v_add_f64 v[10:11], v[62:63], v[48:49]
	v_fmac_f64_e32 v[62:63], -0.5, v[30:31]
	v_add_f64 v[30:31], v[52:53], -v[88:89]
	v_fma_f64 v[34:35], s[0:1], v[30:31], v[62:63]
	v_fmac_f64_e32 v[62:63], s[4:5], v[30:31]
	v_add_f64 v[30:31], v[12:13], v[52:53]
	v_fmac_f64_e32 v[92:93], v[90:91], v[154:155]
	v_mul_f64 v[90:91], v[90:91], v[156:157]
	v_add_f64 v[152:153], v[30:31], v[88:89]
	v_add_f64 v[30:31], v[52:53], v[88:89]
	v_fma_f64 v[90:91], v[200:201], v[154:155], -v[90:91]
	v_fmac_f64_e32 v[12:13], -0.5, v[30:31]
	v_add_f64 v[30:31], v[48:49], -v[58:59]
	v_add_f64 v[38:39], v[92:93], v[94:95]
	v_fma_f64 v[88:89], s[4:5], v[30:31], v[12:13]
	v_fmac_f64_e32 v[12:13], s[0:1], v[30:31]
	v_add_f64 v[30:31], v[116:117], v[92:93]
	v_fmac_f64_e32 v[116:117], -0.5, v[38:39]
	v_add_f64 v[38:39], v[90:91], -v[84:85]
	v_mul_f64 v[96:97], v[206:207], v[164:165]
	v_mul_f64 v[98:99], v[204:205], v[160:161]
	v_fma_f64 v[40:41], s[0:1], v[38:39], v[116:117]
	v_fmac_f64_e32 v[116:117], s[4:5], v[38:39]
	v_add_f64 v[38:39], v[114:115], v[90:91]
	v_fmac_f64_e32 v[96:97], v[76:77], v[162:163]
	v_mul_f64 v[76:77], v[76:77], v[164:165]
	v_fmac_f64_e32 v[98:99], v[86:87], v[158:159]
	v_mul_f64 v[86:87], v[86:87], v[160:161]
	v_add_f64 v[154:155], v[38:39], v[84:85]
	v_add_f64 v[38:39], v[90:91], v[84:85]
	v_fma_f64 v[76:77], v[206:207], v[162:163], -v[76:77]
	v_fma_f64 v[86:87], v[204:205], v[158:159], -v[86:87]
	v_add_f64 v[18:19], v[18:19], v[42:43]
	v_fmac_f64_e32 v[114:115], -0.5, v[38:39]
	v_add_f64 v[38:39], v[92:93], -v[94:95]
	v_add_f64 v[42:43], v[96:97], v[98:99]
	v_fma_f64 v[84:85], s[4:5], v[38:39], v[114:115]
	v_fmac_f64_e32 v[114:115], s[0:1], v[38:39]
	v_add_f64 v[38:39], v[36:37], v[96:97]
	v_fmac_f64_e32 v[36:37], -0.5, v[42:43]
	v_add_f64 v[42:43], v[76:77], -v[86:87]
	s_waitcnt vmcnt(0)
	v_mul_f64 v[100:101], v[208:209], v[172:173]
	v_fma_f64 v[44:45], s[0:1], v[42:43], v[36:37]
	v_fmac_f64_e32 v[36:37], s[4:5], v[42:43]
	v_add_f64 v[42:43], v[112:113], v[76:77]
	v_fmac_f64_e32 v[100:101], v[78:79], v[170:171]
	v_mul_f64 v[78:79], v[78:79], v[172:173]
	v_add_f64 v[90:91], v[42:43], v[86:87]
	v_add_f64 v[42:43], v[76:77], v[86:87]
	v_fma_f64 v[78:79], v[208:209], v[170:171], -v[78:79]
	v_fmac_f64_e32 v[112:113], -0.5, v[42:43]
	v_add_f64 v[42:43], v[96:97], -v[98:99]
	v_add_f64 v[46:47], v[100:101], v[102:103]
	v_fma_f64 v[86:87], s[4:5], v[42:43], v[112:113]
	v_fmac_f64_e32 v[112:113], s[0:1], v[42:43]
	v_add_f64 v[42:43], v[56:57], v[100:101]
	v_fmac_f64_e32 v[56:57], -0.5, v[46:47]
	v_add_f64 v[46:47], v[78:79], -v[54:55]
	v_fma_f64 v[48:49], s[0:1], v[46:47], v[56:57]
	v_fmac_f64_e32 v[56:57], s[4:5], v[46:47]
	v_add_f64 v[46:47], v[4:5], v[78:79]
	v_add_f64 v[92:93], v[46:47], v[54:55]
	;; [unrolled: 1-line block ×3, first 2 shown]
	v_fmac_f64_e32 v[4:5], -0.5, v[46:47]
	v_add_f64 v[46:47], v[100:101], -v[102:103]
	v_fma_f64 v[78:79], s[4:5], v[46:47], v[4:5]
	v_fmac_f64_e32 v[4:5], s[0:1], v[46:47]
	v_mov_b32_e32 v46, 3
	v_lshlrev_b32_sdwa v9, v46, v9 dst_sel:DWORD dst_unused:UNUSED_PAD src0_sel:DWORD src1_sel:BYTE_0
	v_add_f64 v[30:31], v[30:31], v[94:95]
	v_add3_u32 v94, 0, v8, v9
	v_mul_u32_u24_e32 v8, 0x198, v26
	v_lshlrev_b32_sdwa v9, v46, v27 dst_sel:DWORD dst_unused:UNUSED_PAD src0_sel:DWORD src1_sel:BYTE_0
	ds_write2_b64 v94, v[104:105], v[108:109] offset1:17
	ds_write_b64 v94, v[72:73] offset:272
	v_add3_u32 v72, 0, v8, v9
	ds_write2_b64 v72, v[0:1], v[110:111] offset1:17
	ds_write_b64 v72, v[74:75] offset:272
	v_mul_u32_u24_e32 v0, 0x198, v141
	v_lshlrev_b32_sdwa v1, v46, v185 dst_sel:DWORD dst_unused:UNUSED_PAD src0_sel:DWORD src1_sel:BYTE_0
	v_add3_u32 v73, 0, v0, v1
	v_mul_u32_u24_e32 v0, 0x198, v210
	v_lshlrev_b32_sdwa v1, v46, v211 dst_sel:DWORD dst_unused:UNUSED_PAD src0_sel:DWORD src1_sel:BYTE_0
	v_add3_u32 v74, 0, v0, v1
	v_mul_u32_u24_e32 v0, 0x198, v212
	v_lshlrev_b32_sdwa v1, v46, v213 dst_sel:DWORD dst_unused:UNUSED_PAD src0_sel:DWORD src1_sel:BYTE_0
	ds_write2_b64 v73, v[2:3], v[22:23] offset1:17
	ds_write_b64 v73, v[16:17] offset:272
	ds_write2_b64 v74, v[18:19], v[24:25] offset1:17
	ds_write_b64 v74, v[66:67] offset:272
	v_add3_u32 v66, 0, v0, v1
	v_mul_u32_u24_e32 v0, 0x198, v214
	v_lshlrev_b32_e32 v1, 3, v215
	v_add3_u32 v67, 0, v0, v1
	v_perm_b32 v0, v218, v216, s11
	v_pk_mul_lo_u16 v0, v0, s10 op_sel_hi:[1,0]
	v_add_f64 v[20:21], v[20:21], v[50:51]
	v_add_f64 v[10:11], v[10:11], v[58:59]
	v_and_b32_e32 v1, 0xfff8, v0
	v_lshlrev_b32_e32 v2, 3, v217
	ds_write2_b64 v66, v[20:21], v[32:33] offset1:17
	ds_write_b64 v66, v[28:29] offset:272
	ds_write2_b64 v67, v[10:11], v[34:35] offset1:17
	ds_write_b64 v67, v[62:63] offset:272
	v_add3_u32 v62, 0, v1, v2
	v_lshrrev_b32_e32 v0, 16, v0
	v_lshlrev_b32_e32 v1, 3, v219
	v_add3_u32 v63, 0, v0, v1
	v_mul_u32_u24_e32 v0, 0x198, v220
	v_lshlrev_b32_e32 v1, 3, v221
	v_add_f64 v[38:39], v[38:39], v[98:99]
	v_add_f64 v[42:43], v[42:43], v[102:103]
	v_add3_u32 v75, 0, v0, v1
	v_add_u32_e32 v96, 0x1400, v122
	v_add_u32_e32 v97, 0x2400, v122
	v_lshlrev_b32_e32 v104, 3, v184
	v_mov_b32_e32 v105, 0
	ds_write2_b64 v62, v[30:31], v[40:41] offset1:17
	ds_write_b64 v62, v[116:117] offset:272
	ds_write2_b64 v63, v[38:39], v[44:45] offset1:17
	ds_write_b64 v63, v[36:37] offset:272
	;; [unrolled: 2-line block ×3, first 2 shown]
	s_waitcnt lgkmcnt(0)
	; wave barrier
	s_waitcnt lgkmcnt(0)
	ds_read2_b64 v[8:11], v122 offset1:51
	ds_read2_b64 v[0:3], v122 offset0:102 offset1:153
	ds_read_b64 v[76:77], v124
	ds_read2_b64 v[56:59], v129 offset0:203 offset1:254
	ds_read2_b64 v[32:35], v131 offset0:49 offset1:100
	;; [unrolled: 1-line block ×11, first 2 shown]
	s_waitcnt lgkmcnt(0)
	; wave barrier
	s_waitcnt lgkmcnt(0)
	ds_write2_b64 v94, v[106:107], v[14:15] offset1:17
	ds_write_b64 v94, v[6:7] offset:272
	ds_write2_b64 v72, v[68:69], v[118:119] offset1:17
	ds_write_b64 v72, v[70:71] offset:272
	;; [unrolled: 2-line block ×9, first 2 shown]
	v_lshl_add_u64 v[4:5], v[104:105], 4, s[8:9]
	s_waitcnt lgkmcnt(0)
	; wave barrier
	s_waitcnt lgkmcnt(0)
	global_load_dwordx4 v[72:75], v[4:5], off offset:544
	global_load_dwordx4 v[68:71], v[4:5], off offset:560
	global_load_dwordx4 v[64:67], v[4:5], off offset:576
	global_load_dwordx4 v[60:63], v[4:5], off offset:592
	global_load_dwordx4 v[100:103], v[4:5], off offset:608
	global_load_dwordx4 v[106:109], v[4:5], off offset:624
	global_load_dwordx4 v[110:113], v[4:5], off offset:640
	global_load_dwordx4 v[114:117], v[4:5], off offset:656
	s_movk_i32 s10, 0xa1
	v_mul_lo_u16_sdwa v80, v120, s10 dst_sel:DWORD dst_unused:UNUSED_PAD src0_sel:BYTE_0 src1_sel:DWORD
	v_lshrrev_b16_e32 v80, 13, v80
	v_mul_lo_u16_e32 v80, 51, v80
	v_sub_u16_e32 v80, v120, v80
	v_and_b32_e32 v98, 0xff, v80
	v_lshlrev_b32_e32 v80, 7, v98
	ds_read2_b64 v[12:15], v122 offset1:51
	ds_read2_b64 v[4:7], v122 offset0:102 offset1:153
	ds_read_b64 v[78:79], v124
	ds_read2_b64 v[92:95], v129 offset0:203 offset1:254
	ds_read2_b64 v[142:145], v131 offset0:49 offset1:100
	global_load_dwordx4 v[146:149], v80, s[8:9] offset:560
	global_load_dwordx4 v[150:153], v80, s[8:9] offset:544
	ds_read2_b64 v[154:157], v96 offset0:125 offset1:176
	ds_read2_b64 v[158:161], v128 offset0:99 offset1:150
	;; [unrolled: 1-line block ×6, first 2 shown]
	global_load_dwordx4 v[178:181], v80, s[8:9] offset:592
	global_load_dwordx4 v[186:189], v80, s[8:9] offset:576
	ds_read2_b64 v[190:193], v131 offset0:151 offset1:202
	ds_read2_b64 v[194:197], v128 offset0:201 offset1:252
	;; [unrolled: 1-line block ×3, first 2 shown]
	global_load_dwordx4 v[202:205], v80, s[8:9] offset:624
	global_load_dwordx4 v[206:209], v80, s[8:9] offset:608
	global_load_dwordx4 v[210:213], v80, s[8:9] offset:656
	global_load_dwordx4 v[214:217], v80, s[8:9] offset:640
	s_mov_b32 s10, 0x8c811c17
	s_mov_b32 s11, 0x3fef838b
	;; [unrolled: 1-line block ×4, first 2 shown]
	s_waitcnt lgkmcnt(0)
	; wave barrier
	s_waitcnt vmcnt(15) lgkmcnt(0)
	v_mul_f64 v[118:119], v[6:7], v[74:75]
	v_fmac_f64_e32 v[118:119], v[2:3], v[72:73]
	v_mul_f64 v[2:3], v[2:3], v[74:75]
	v_fma_f64 v[182:183], v[6:7], v[72:73], -v[2:3]
	s_waitcnt vmcnt(14)
	v_mul_f64 v[2:3], v[76:77], v[70:71]
	v_fma_f64 v[220:221], v[78:79], v[68:69], -v[2:3]
	s_waitcnt vmcnt(13)
	;; [unrolled: 3-line block ×4, first 2 shown]
	v_mul_f64 v[2:3], v[52:53], v[102:103]
	v_mul_f64 v[218:219], v[78:79], v[70:71]
	;; [unrolled: 1-line block ×3, first 2 shown]
	v_fma_f64 v[96:97], v[154:155], v[100:101], -v[2:3]
	s_waitcnt vmcnt(10)
	v_mul_f64 v[144:145], v[160:161], v[108:109]
	v_mul_f64 v[2:3], v[26:27], v[108:109]
	v_fmac_f64_e32 v[144:145], v[26:27], v[106:107]
	v_fma_f64 v[26:27], v[160:161], v[106:107], -v[2:3]
	s_waitcnt vmcnt(9)
	v_mul_f64 v[2:3], v[48:49], v[112:113]
	v_fma_f64 v[160:161], v[162:163], v[110:111], -v[2:3]
	s_waitcnt vmcnt(8)
	v_mul_f64 v[2:3], v[18:19], v[116:117]
	v_mul_f64 v[82:83], v[154:155], v[102:103]
	v_mul_f64 v[154:155], v[162:163], v[112:113]
	v_mul_f64 v[162:163], v[168:169], v[116:117]
	v_fma_f64 v[168:169], v[168:169], v[114:115], -v[2:3]
	v_mul_f64 v[2:3], v[44:45], v[74:75]
	v_fma_f64 v[86:87], v[170:171], v[72:73], -v[2:3]
	v_mul_f64 v[2:3], v[40:41], v[70:71]
	;; [unrolled: 2-line block ×3, first 2 shown]
	v_mul_f64 v[222:223], v[92:93], v[66:67]
	v_mul_f64 v[92:93], v[94:95], v[66:67]
	v_fma_f64 v[94:95], v[94:95], v[64:65], -v[2:3]
	v_mul_f64 v[2:3], v[36:37], v[62:63]
	v_fmac_f64_e32 v[222:223], v[56:57], v[64:65]
	v_fmac_f64_e32 v[82:83], v[52:53], v[100:101]
	v_fma_f64 v[52:53], v[190:191], v[60:61], -v[2:3]
	v_mul_f64 v[56:57], v[156:157], v[102:103]
	v_mul_f64 v[2:3], v[54:55], v[102:103]
	v_fmac_f64_e32 v[56:57], v[54:55], v[100:101]
	v_fma_f64 v[54:55], v[156:157], v[100:101], -v[2:3]
	v_mul_f64 v[2:3], v[28:29], v[108:109]
	v_fma_f64 v[102:103], v[194:195], v[106:107], -v[2:3]
	v_mul_f64 v[2:3], v[50:51], v[112:113]
	v_mul_f64 v[100:101], v[194:195], v[108:109]
	v_fma_f64 v[108:109], v[164:165], v[110:111], -v[2:3]
	v_mul_f64 v[2:3], v[20:21], v[116:117]
	v_fmac_f64_e32 v[154:155], v[48:49], v[110:111]
	v_mul_f64 v[88:89], v[174:175], v[70:71]
	v_mul_f64 v[48:49], v[190:191], v[62:63]
	v_fmac_f64_e32 v[100:101], v[28:29], v[106:107]
	v_mul_f64 v[106:107], v[164:165], v[112:113]
	v_fma_f64 v[112:113], v[198:199], v[114:115], -v[2:3]
	s_waitcnt vmcnt(6)
	v_mul_f64 v[2:3], v[46:47], v[152:153]
	v_mul_f64 v[84:85], v[170:171], v[74:75]
	v_fmac_f64_e32 v[88:89], v[40:41], v[68:69]
	v_fmac_f64_e32 v[48:49], v[36:37], v[60:61]
	v_fma_f64 v[36:37], v[172:173], v[150:151], -v[2:3]
	v_mul_f64 v[40:41], v[176:177], v[148:149]
	v_mul_f64 v[2:3], v[42:43], v[148:149]
	v_fmac_f64_e32 v[218:219], v[76:77], v[68:69]
	v_fmac_f64_e32 v[78:79], v[34:35], v[60:61]
	;; [unrolled: 1-line block ×5, first 2 shown]
	v_mul_f64 v[110:111], v[198:199], v[116:117]
	v_fmac_f64_e32 v[40:41], v[42:43], v[146:147]
	v_fma_f64 v[42:43], v[176:177], v[146:147], -v[2:3]
	s_waitcnt vmcnt(4)
	v_mul_f64 v[44:45], v[142:143], v[188:189]
	v_mul_f64 v[2:3], v[32:33], v[188:189]
	v_fmac_f64_e32 v[110:111], v[20:21], v[114:115]
	v_mul_f64 v[34:35], v[172:173], v[152:153]
	v_fmac_f64_e32 v[44:45], v[32:33], v[186:187]
	v_fma_f64 v[32:33], v[142:143], v[186:187], -v[2:3]
	s_waitcnt vmcnt(2)
	v_mul_f64 v[20:21], v[24:25], v[208:209]
	v_add_f64 v[114:115], v[118:119], v[162:163]
	v_add_f64 v[142:143], v[218:219], v[154:155]
	;; [unrolled: 1-line block ×3, first 2 shown]
	v_add_f64 v[66:67], v[118:119], -v[162:163]
	v_add_f64 v[152:153], v[218:219], -v[154:155]
	;; [unrolled: 1-line block ×4, first 2 shown]
	v_add_f64 v[162:163], v[78:79], v[82:83]
	v_fmac_f64_e32 v[92:93], v[58:59], v[64:65]
	v_fmac_f64_e32 v[34:35], v[46:47], v[150:151]
	v_mul_f64 v[18:19], v[158:159], v[208:209]
	v_fma_f64 v[20:21], v[158:159], v[206:207], -v[20:21]
	v_mul_f64 v[58:59], v[196:197], v[204:205]
	s_waitcnt vmcnt(0)
	v_mul_f64 v[68:69], v[166:167], v[216:217]
	v_add_f64 v[118:119], v[182:183], -v[168:169]
	v_add_f64 v[158:159], v[78:79], -v[82:83]
	v_add_f64 v[164:165], v[80:81], v[96:97]
	v_mul_f64 v[46:47], v[160:161], s[24:25]
	v_fma_f64 v[28:29], s[14:15], v[162:163], v[8:9]
	v_fmac_f64_e32 v[18:19], v[24:25], v[206:207]
	v_fmac_f64_e32 v[58:59], v[30:31], v[202:203]
	v_mul_f64 v[24:25], v[30:31], v[204:205]
	v_fmac_f64_e32 v[68:69], v[16:17], v[214:215]
	v_mul_f64 v[16:17], v[16:17], v[216:217]
	v_add_f64 v[116:117], v[182:183], v[168:169]
	v_add_f64 v[148:149], v[222:223], v[144:145]
	v_add_f64 v[156:157], v[224:225], -v[26:27]
	v_mul_f64 v[30:31], v[158:159], s[24:25]
	v_fmac_f64_e32 v[46:47], s[10:11], v[118:119]
	v_fma_f64 v[50:51], s[14:15], v[164:165], v[12:13]
	v_fmac_f64_e32 v[28:29], s[20:21], v[114:115]
	v_fma_f64 v[62:63], v[196:197], v[202:203], -v[24:25]
	v_fma_f64 v[70:71], v[166:167], v[214:215], -v[16:17]
	v_mul_f64 v[16:17], v[22:23], v[212:213]
	v_add_f64 v[150:151], v[224:225], v[26:27]
	v_add_f64 v[144:145], v[222:223], -v[144:145]
	v_mul_f64 v[24:25], v[66:67], s[28:29]
	v_fmac_f64_e32 v[30:31], s[10:11], v[66:67]
	v_fmac_f64_e32 v[46:47], s[26:27], v[156:157]
	;; [unrolled: 1-line block ×3, first 2 shown]
	v_fmac_f64_e32 v[28:29], -0.5, v[148:149]
	v_mul_f64 v[2:3], v[192:193], v[180:181]
	v_fma_f64 v[76:77], v[200:201], v[210:211], -v[16:17]
	v_mul_f64 v[16:17], v[118:119], s[28:29]
	v_fmac_f64_e32 v[24:25], s[10:11], v[152:153]
	v_fmac_f64_e32 v[30:31], s[26:27], v[144:145]
	v_fmac_f64_e32 v[46:47], s[18:19], v[154:155]
	v_fmac_f64_e32 v[50:51], -0.5, v[150:151]
	v_fmac_f64_e32 v[28:29], s[22:23], v[142:143]
	v_fmac_f64_e32 v[2:3], v[38:39], v[178:179]
	v_mul_f64 v[6:7], v[38:39], v[180:181]
	v_fmac_f64_e32 v[16:17], s[10:11], v[154:155]
	v_fmac_f64_e32 v[24:25], s[12:13], v[144:145]
	;; [unrolled: 1-line block ×4, first 2 shown]
	v_add_f64 v[38:39], v[28:29], -v[46:47]
	v_fmac_f64_e32 v[16:17], s[12:13], v[156:157]
	v_fmac_f64_e32 v[24:25], s[18:19], v[158:159]
	v_add_f64 v[28:29], v[30:31], v[50:51]
	v_fma_f64 v[50:51], 2.0, v[46:47], v[38:39]
	v_add_f64 v[46:47], v[158:159], v[66:67]
	v_mul_f64 v[158:159], v[158:159], s[10:11]
	v_fmac_f64_e32 v[16:17], s[18:19], v[160:161]
	v_add_f64 v[60:61], v[160:161], v[118:119]
	v_add_f64 v[74:75], v[46:47], -v[152:153]
	v_mul_f64 v[160:161], v[160:161], s[10:11]
	v_fma_f64 v[152:153], v[152:153], s[24:25], -v[158:159]
	v_add_f64 v[60:61], v[60:61], -v[154:155]
	v_add_f64 v[170:171], v[142:143], v[114:115]
	v_fma_f64 v[154:155], v[154:155], s[24:25], -v[160:161]
	v_fmac_f64_e32 v[152:153], s[12:13], v[144:145]
	v_add_f64 v[172:173], v[146:147], v[116:117]
	v_fmac_f64_e32 v[154:155], s[12:13], v[156:157]
	v_fmac_f64_e32 v[152:153], s[18:19], v[66:67]
	v_add_f64 v[66:67], v[148:149], v[170:171]
	v_fmac_f64_e32 v[154:155], s[18:19], v[118:119]
	v_add_f64 v[118:119], v[150:151], v[172:173]
	v_add_f64 v[66:67], v[78:79], v[66:67]
	v_mul_f64 v[72:73], v[200:201], v[212:213]
	v_add_f64 v[78:79], v[80:81], v[118:119]
	v_add_f64 v[66:67], v[82:83], v[66:67]
	v_fmac_f64_e32 v[72:73], v[22:23], v[210:211]
	v_fma_f64 v[22:23], s[14:15], v[114:115], v[8:9]
	v_add_f64 v[64:65], v[8:9], v[148:149]
	v_add_f64 v[80:81], v[96:97], v[78:79]
	;; [unrolled: 1-line block ×3, first 2 shown]
	v_fma_f64 v[8:9], s[14:15], v[142:143], v[8:9]
	v_fma_f64 v[26:27], s[14:15], v[116:117], v[12:13]
	v_add_f64 v[46:47], v[12:13], v[150:151]
	v_add_f64 v[66:67], v[12:13], v[80:81]
	v_fma_f64 v[12:13], s[14:15], v[146:147], v[12:13]
	v_fmac_f64_e32 v[8:9], s[20:21], v[162:163]
	v_fmac_f64_e32 v[12:13], s[20:21], v[164:165]
	v_fmac_f64_e32 v[8:9], -0.5, v[148:149]
	v_fmac_f64_e32 v[12:13], -0.5, v[150:151]
	v_fmac_f64_e32 v[8:9], s[22:23], v[114:115]
	v_add_f64 v[96:97], v[84:85], v[110:111]
	v_add_f64 v[114:115], v[86:87], v[112:113]
	v_add_f64 v[110:111], v[84:85], -v[110:111]
	v_add_f64 v[112:113], v[86:87], -v[112:113]
	v_fmac_f64_e32 v[22:23], s[20:21], v[142:143]
	v_fmac_f64_e32 v[12:13], s[22:23], v[116:117]
	v_add_f64 v[116:117], v[88:89], v[106:107]
	v_add_f64 v[118:119], v[90:91], v[108:109]
	;; [unrolled: 1-line block ×3, first 2 shown]
	v_add_f64 v[88:89], v[88:89], -v[106:107]
	v_add_f64 v[90:91], v[90:91], -v[108:109]
	v_add_f64 v[92:93], v[92:93], -v[100:101]
	v_mul_f64 v[84:85], v[110:111], s[28:29]
	v_mul_f64 v[100:101], v[112:113], s[28:29]
	v_fma_f64 v[86:87], s[14:15], v[96:97], v[10:11]
	v_fma_f64 v[108:109], s[14:15], v[114:115], v[14:15]
	v_add_f64 v[144:145], v[94:95], v[102:103]
	v_add_f64 v[94:95], v[94:95], -v[102:103]
	v_fmac_f64_e32 v[84:85], s[10:11], v[88:89]
	v_fmac_f64_e32 v[100:101], s[10:11], v[90:91]
	;; [unrolled: 1-line block ×5, first 2 shown]
	v_fmac_f64_e32 v[22:23], -0.5, v[148:149]
	v_fmac_f64_e32 v[84:85], s[12:13], v[92:93]
	v_fmac_f64_e32 v[100:101], s[12:13], v[94:95]
	v_add_f64 v[102:103], v[48:49], -v[56:57]
	v_add_f64 v[106:107], v[52:53], -v[54:55]
	v_fmac_f64_e32 v[86:87], -0.5, v[142:143]
	v_fmac_f64_e32 v[108:109], -0.5, v[144:145]
	v_add_f64 v[146:147], v[48:49], v[56:57]
	v_add_f64 v[148:149], v[52:53], v[54:55]
	v_fmac_f64_e32 v[84:85], s[18:19], v[102:103]
	v_fmac_f64_e32 v[100:101], s[18:19], v[106:107]
	v_fmac_f64_e32 v[86:87], s[22:23], v[146:147]
	v_fmac_f64_e32 v[108:109], s[22:23], v[148:149]
	v_fmac_f64_e32 v[26:27], -0.5, v[150:151]
	v_add_f64 v[150:151], v[86:87], -v[100:101]
	v_add_f64 v[86:87], v[84:85], v[108:109]
	v_mul_f64 v[108:109], v[102:103], s[24:25]
	v_fmac_f64_e32 v[108:109], s[10:11], v[110:111]
	v_fmac_f64_e32 v[108:109], s[26:27], v[92:93]
	v_add_f64 v[158:159], v[102:103], v[110:111]
	v_mul_f64 v[102:103], v[102:103], s[10:11]
	v_add_f64 v[174:175], v[162:163], v[170:171]
	v_fmac_f64_e32 v[108:109], s[18:19], v[88:89]
	v_add_f64 v[158:159], v[158:159], -v[88:89]
	v_add_f64 v[170:171], v[116:117], v[96:97]
	v_fma_f64 v[88:89], v[88:89], s[24:25], -v[102:103]
	v_add_f64 v[176:177], v[164:165], v[172:173]
	v_add_f64 v[80:81], v[8:9], -v[154:155]
	v_add_f64 v[8:9], v[152:153], v[12:13]
	v_fmac_f64_e32 v[88:89], s[12:13], v[92:93]
	v_add_f64 v[92:93], v[142:143], v[170:171]
	v_fmac_f64_e32 v[46:47], -0.5, v[176:177]
	v_fma_f64 v[12:13], -2.0, v[152:153], v[8:9]
	v_mul_f64 v[152:153], v[106:107], s[24:25]
	v_add_f64 v[48:49], v[48:49], v[92:93]
	v_mul_f64 v[166:167], v[74:75], s[12:13]
	v_fmac_f64_e32 v[64:65], -0.5, v[174:175]
	v_fmac_f64_e32 v[46:47], s[12:13], v[74:75]
	v_fmac_f64_e32 v[152:153], s[10:11], v[112:113]
	v_add_f64 v[48:49], v[56:57], v[48:49]
	v_mul_f64 v[168:169], v[60:61], s[12:13]
	v_fmac_f64_e32 v[64:65], s[26:27], v[60:61]
	v_fma_f64 v[60:61], -2.0, v[166:167], v[46:47]
	v_fma_f64 v[82:83], 2.0, v[154:155], v[80:81]
	v_fmac_f64_e32 v[152:153], s[26:27], v[94:95]
	v_fma_f64 v[154:155], s[14:15], v[146:147], v[10:11]
	v_add_f64 v[160:161], v[106:107], v[112:113]
	v_add_f64 v[166:167], v[10:11], v[142:143]
	v_mul_f64 v[106:107], v[106:107], s[10:11]
	v_add_f64 v[48:49], v[10:11], v[48:49]
	v_fmac_f64_e32 v[10:11], s[14:15], v[116:117]
	v_fmac_f64_e32 v[152:153], s[18:19], v[90:91]
	v_add_f64 v[160:161], v[160:161], -v[90:91]
	v_add_f64 v[172:173], v[118:119], v[114:115]
	v_fma_f64 v[90:91], v[90:91], s[24:25], -v[106:107]
	v_fmac_f64_e32 v[10:11], s[20:21], v[146:147]
	v_fmac_f64_e32 v[90:91], s[12:13], v[94:95]
	v_add_f64 v[94:95], v[144:145], v[172:173]
	v_fmac_f64_e32 v[10:11], -0.5, v[142:143]
	v_fmac_f64_e32 v[90:91], s[18:19], v[112:113]
	v_add_f64 v[52:53], v[52:53], v[94:95]
	v_fmac_f64_e32 v[10:11], s[22:23], v[96:97]
	v_add_f64 v[52:53], v[54:55], v[52:53]
	v_add_f64 v[10:11], v[10:11], -v[90:91]
	v_add_f64 v[54:55], v[34:35], v[72:73]
	v_add_f64 v[56:57], v[36:37], v[76:77]
	v_add_f64 v[34:35], v[34:35], -v[72:73]
	v_fmac_f64_e32 v[154:155], s[20:21], v[96:97]
	v_add_f64 v[92:93], v[14:15], v[52:53]
	v_fma_f64 v[52:53], 2.0, v[90:91], v[10:11]
	v_add_f64 v[90:91], v[40:41], v[68:69]
	v_add_f64 v[94:95], v[42:43], v[70:71]
	;; [unrolled: 1-line block ×3, first 2 shown]
	v_add_f64 v[36:37], v[36:37], -v[76:77]
	v_add_f64 v[40:41], v[40:41], -v[68:69]
	v_add_f64 v[44:45], v[44:45], -v[58:59]
	v_mul_f64 v[58:59], v[34:35], s[28:29]
	v_fma_f64 v[76:77], s[14:15], v[56:57], v[4:5]
	v_fma_f64 v[6:7], v[192:193], v[178:179], -v[6:7]
	v_add_f64 v[102:103], v[32:33], v[62:63]
	v_fmac_f64_e32 v[58:59], s[10:11], v[40:41]
	v_fmac_f64_e32 v[76:77], s[20:21], v[94:95]
	v_fma_f64 v[74:75], 2.0, v[168:169], v[64:65]
	v_fma_f64 v[156:157], s[14:15], v[148:149], v[14:15]
	v_add_f64 v[168:169], v[14:15], v[144:145]
	v_fmac_f64_e32 v[88:89], s[18:19], v[110:111]
	v_fmac_f64_e32 v[14:15], s[14:15], v[118:119]
	;; [unrolled: 1-line block ×3, first 2 shown]
	v_add_f64 v[68:69], v[2:3], -v[18:19]
	v_fmac_f64_e32 v[76:77], -0.5, v[102:103]
	v_add_f64 v[110:111], v[6:7], v[20:21]
	v_fmac_f64_e32 v[156:157], s[20:21], v[114:115]
	v_fmac_f64_e32 v[14:15], s[20:21], v[148:149]
	;; [unrolled: 1-line block ×4, first 2 shown]
	v_fmac_f64_e32 v[156:157], -0.5, v[144:145]
	v_fmac_f64_e32 v[14:15], -0.5, v[144:145]
	v_add_f64 v[112:113], v[58:59], v[76:77]
	v_fmac_f64_e32 v[156:157], s[22:23], v[118:119]
	v_fmac_f64_e32 v[14:15], s[22:23], v[114:115]
	v_fma_f64 v[114:115], -2.0, v[58:59], v[112:113]
	v_mul_f64 v[58:59], v[68:69], s[24:25]
	v_fma_f64 v[118:119], s[14:15], v[110:111], v[4:5]
	v_fmac_f64_e32 v[58:59], s[10:11], v[34:35]
	v_fmac_f64_e32 v[118:119], s[20:21], v[56:57]
	v_add_f64 v[42:43], v[42:43], -v[70:71]
	v_add_f64 v[32:33], v[32:33], -v[62:63]
	v_mul_f64 v[62:63], v[36:37], s[28:29]
	v_add_f64 v[70:71], v[6:7], -v[20:21]
	v_fmac_f64_e32 v[58:59], s[26:27], v[44:45]
	v_fmac_f64_e32 v[118:119], -0.5, v[102:103]
	v_fmac_f64_e32 v[62:63], s[10:11], v[42:43]
	v_mul_f64 v[76:77], v[70:71], s[24:25]
	v_fmac_f64_e32 v[58:59], s[18:19], v[40:41]
	v_fmac_f64_e32 v[118:119], s[22:23], v[94:95]
	;; [unrolled: 1-line block ×4, first 2 shown]
	v_add_f64 v[118:119], v[58:59], v[118:119]
	v_fmac_f64_e32 v[154:155], -0.5, v[142:143]
	v_add_f64 v[174:175], v[146:147], v[170:171]
	v_fmac_f64_e32 v[62:63], s[18:19], v[70:71]
	v_fmac_f64_e32 v[76:77], s[26:27], v[32:33]
	v_fma_f64 v[142:143], -2.0, v[58:59], v[118:119]
	v_add_f64 v[58:59], v[68:69], v[34:35]
	v_add_f64 v[144:145], v[70:71], v[36:37]
	v_mul_f64 v[68:69], v[68:69], s[10:11]
	v_mul_f64 v[70:71], v[70:71], s[10:11]
	v_add_f64 v[176:177], v[148:149], v[172:173]
	v_fmac_f64_e32 v[166:167], -0.5, v[174:175]
	v_fmac_f64_e32 v[76:77], s[18:19], v[42:43]
	v_add_f64 v[58:59], v[58:59], -v[40:41]
	v_add_f64 v[144:145], v[144:145], -v[42:43]
	v_add_f64 v[170:171], v[90:91], v[54:55]
	v_fma_f64 v[40:41], v[40:41], s[24:25], -v[68:69]
	v_fma_f64 v[42:43], v[42:43], s[24:25], -v[70:71]
	v_fmac_f64_e32 v[26:27], s[22:23], v[164:165]
	v_mul_f64 v[164:165], v[160:161], s[12:13]
	v_fmac_f64_e32 v[168:169], -0.5, v[176:177]
	v_fmac_f64_e32 v[166:167], s[26:27], v[160:161]
	v_add_f64 v[172:173], v[94:95], v[56:57]
	v_fmac_f64_e32 v[40:41], s[12:13], v[44:45]
	v_fmac_f64_e32 v[42:43], s[12:13], v[32:33]
	v_add_f64 v[32:33], v[96:97], v[170:171]
	v_fmac_f64_e32 v[22:23], s[22:23], v[162:163]
	v_mul_f64 v[162:163], v[158:159], s[12:13]
	v_fmac_f64_e32 v[168:169], s[12:13], v[158:159]
	v_fma_f64 v[158:159], 2.0, v[164:165], v[166:167]
	v_add_f64 v[106:107], v[2:3], v[18:19]
	v_add_f64 v[164:165], v[4:5], v[102:103]
	;; [unrolled: 1-line block ×3, first 2 shown]
	v_fmac_f64_e32 v[40:41], s[18:19], v[34:35]
	v_add_f64 v[34:35], v[102:103], v[172:173]
	v_add_f64 v[2:3], v[2:3], v[32:33]
	v_fma_f64 v[160:161], -2.0, v[162:163], v[168:169]
	v_add_f64 v[162:163], v[0:1], v[96:97]
	v_add_f64 v[174:175], v[106:107], v[170:171]
	v_fmac_f64_e32 v[164:165], -0.5, v[176:177]
	v_add_f64 v[6:7], v[6:7], v[34:35]
	v_add_f64 v[2:3], v[18:19], v[2:3]
	v_fmac_f64_e32 v[154:155], s[22:23], v[116:117]
	v_fma_f64 v[72:73], s[14:15], v[54:55], v[0:1]
	v_fma_f64 v[116:117], s[14:15], v[106:107], v[0:1]
	v_mul_f64 v[146:147], v[58:59], s[12:13]
	v_fmac_f64_e32 v[162:163], -0.5, v[174:175]
	v_fmac_f64_e32 v[164:165], s[12:13], v[58:59]
	v_add_f64 v[6:7], v[20:21], v[6:7]
	v_add_f64 v[2:3], v[0:1], v[2:3]
	v_fmac_f64_e32 v[0:1], s[14:15], v[90:91]
	v_fmac_f64_e32 v[72:73], s[20:21], v[90:91]
	v_fmac_f64_e32 v[116:117], s[20:21], v[54:55]
	v_mul_f64 v[148:149], v[144:145], s[12:13]
	v_fmac_f64_e32 v[162:163], s[26:27], v[144:145]
	v_fma_f64 v[144:145], -2.0, v[146:147], v[164:165]
	v_add_f64 v[146:147], v[4:5], v[6:7]
	v_fmac_f64_e32 v[4:5], s[14:15], v[94:95]
	v_fmac_f64_e32 v[0:1], s[20:21], v[106:107]
	v_add_f64 v[22:23], v[22:23], -v[16:17]
	v_add_f64 v[154:155], v[154:155], -v[152:153]
	v_fmac_f64_e32 v[72:73], -0.5, v[96:97]
	v_fmac_f64_e32 v[116:117], -0.5, v[96:97]
	v_fmac_f64_e32 v[4:5], s[20:21], v[110:111]
	v_fmac_f64_e32 v[0:1], -0.5, v[96:97]
	v_fma_f64 v[16:17], 2.0, v[16:17], v[22:23]
	v_fma_f64 v[100:101], 2.0, v[100:101], v[150:151]
	;; [unrolled: 1-line block ×3, first 2 shown]
	v_fmac_f64_e32 v[72:73], s[22:23], v[106:107]
	v_fmac_f64_e32 v[116:117], s[22:23], v[90:91]
	v_fmac_f64_e32 v[42:43], s[18:19], v[36:37]
	v_fmac_f64_e32 v[4:5], -0.5, v[102:103]
	v_fmac_f64_e32 v[0:1], s[22:23], v[54:55]
	ds_write2_b64 v122, v[78:79], v[22:23] offset1:51
	ds_write2_b64 v122, v[38:39], v[64:65] offset0:102 offset1:153
	ds_write2_b64 v122, v[80:81], v[82:83] offset0:204 offset1:255
	;; [unrolled: 1-line block ×8, first 2 shown]
	v_lshl_add_u32 v10, v98, 3, 0
	v_add_f64 v[72:73], v[72:73], -v[62:63]
	v_add_f64 v[116:117], v[116:117], -v[76:77]
	v_fmac_f64_e32 v[4:5], s[22:23], v[56:57]
	v_add_f64 v[0:1], v[0:1], -v[42:43]
	v_add_u32_e32 v11, 0x1800, v10
	v_fma_f64 v[62:63], 2.0, v[62:63], v[72:73]
	v_fma_f64 v[76:77], 2.0, v[76:77], v[116:117]
	;; [unrolled: 1-line block ×3, first 2 shown]
	v_add_f64 v[90:91], v[40:41], v[4:5]
	v_fma_f64 v[4:5], 2.0, v[42:43], v[0:1]
	ds_write2_b64 v11, v[2:3], v[72:73] offset0:150 offset1:201
	v_add_u32_e32 v72, 0x1c00, v10
	v_add_u32_e32 v73, 0x2000, v10
	v_fma_f64 v[94:95], -2.0, v[40:41], v[90:91]
	ds_write2_b64 v72, v[116:117], v[162:163] offset0:124 offset1:175
	ds_write2_b64 v73, v[0:1], v[4:5] offset0:98 offset1:149
	;; [unrolled: 1-line block ×3, first 2 shown]
	ds_write_b64 v10, v[62:63] offset:10608
	s_waitcnt lgkmcnt(0)
	; wave barrier
	s_waitcnt lgkmcnt(0)
	ds_read2_b64 v[0:3], v122 offset1:51
	ds_read2_b64 v[20:23], v129 offset0:152 offset1:203
	ds_read2_b64 v[16:19], v128 offset0:150 offset1:201
	;; [unrolled: 1-line block ×10, first 2 shown]
	ds_read_b64 v[44:45], v125
	ds_read2_b64 v[4:7], v128 offset0:48 offset1:99
	ds_read_b64 v[64:65], v124
	ds_read_b64 v[62:63], v122 offset:10608
	v_add_f64 v[26:27], v[24:25], v[26:27]
	v_add_f64 v[156:157], v[108:109], v[156:157]
	;; [unrolled: 1-line block ×3, first 2 shown]
	v_fma_f64 v[24:25], -2.0, v[24:25], v[26:27]
	v_fma_f64 v[30:31], -2.0, v[30:31], v[28:29]
	;; [unrolled: 1-line block ×5, first 2 shown]
	s_waitcnt lgkmcnt(0)
	; wave barrier
	s_waitcnt lgkmcnt(0)
	ds_write2_b64 v122, v[66:67], v[26:27] offset1:51
	ds_write2_b64 v122, v[28:29], v[46:47] offset0:102 offset1:153
	ds_write2_b64 v122, v[8:9], v[12:13] offset0:204 offset1:255
	;; [unrolled: 1-line block ×12, first 2 shown]
	ds_write_b64 v10, v[114:115] offset:10608
	s_waitcnt lgkmcnt(0)
	; wave barrier
	s_waitcnt lgkmcnt(0)
	s_and_saveexec_b64 s[10:11], vcc
	s_cbranch_execz .LBB0_21
; %bb.20:
	v_lshlrev_b32_e32 v104, 1, v140
	v_lshl_add_u64 v[8:9], v[104:105], 4, s[8:9]
	s_mov_b64 s[10:11], 0x1ba0
	v_add_co_u32_e32 v26, vcc, 0x1000, v8
	v_lshl_add_u64 v[24:25], v[8:9], 0, s[10:11]
	s_nop 0
	v_addc_co_u32_e32 v27, vcc, 0, v9, vcc
	v_lshlrev_b32_e32 v104, 1, v127
	s_movk_i32 s12, 0x1000
	global_load_dwordx4 v[8:11], v[26:27], off offset:2976
	global_load_dwordx4 v[12:15], v[24:25], off offset:16
	v_lshl_add_u64 v[24:25], v[104:105], 4, s[8:9]
	v_add_co_u32_e32 v60, vcc, s12, v24
	v_lshl_add_u64 v[46:47], v[24:25], 0, s[10:11]
	s_nop 0
	v_addc_co_u32_e32 v61, vcc, 0, v25, vcc
	global_load_dwordx4 v[24:27], v[60:61], off offset:2976
	global_load_dwordx4 v[28:31], v[46:47], off offset:16
	v_lshlrev_b32_e32 v104, 1, v126
	v_lshl_add_u64 v[46:47], v[104:105], 4, s[8:9]
	v_add_co_u32_e32 v60, vcc, s12, v46
	v_lshlrev_b32_e32 v104, 1, v135
	s_nop 0
	v_addc_co_u32_e32 v61, vcc, 0, v47, vcc
	v_lshl_add_u64 v[46:47], v[46:47], 0, s[10:11]
	global_load_dwordx4 v[80:83], v[60:61], off offset:2976
	global_load_dwordx4 v[88:91], v[46:47], off offset:16
	v_lshl_add_u64 v[92:93], v[104:105], 4, s[8:9]
	v_lshl_add_u64 v[94:95], v[92:93], 0, s[10:11]
	v_add_co_u32_e32 v92, vcc, s12, v92
	v_mul_lo_u32 v72, s3, v138
	v_mul_lo_u32 v73, s2, v139
	v_mad_u64_u32 v[106:107], s[2:3], s2, v138, 0
	v_add_u32_e32 v74, 0x800, v122
	v_addc_co_u32_e32 v93, vcc, 0, v93, vcc
	v_add_u32_e32 v108, 0x1800, v122
	ds_read_b64 v[46:47], v122 offset:10608
	v_add_u32_e32 v109, 0x2000, v122
	ds_read_b64 v[60:61], v125
	ds_read_b64 v[66:67], v124
	v_add3_u32 v107, v107, v73, v72
	ds_read2_b64 v[72:75], v74 offset0:152 offset1:203
	ds_read2_b64 v[84:87], v108 offset0:48 offset1:99
	;; [unrolled: 1-line block ×3, first 2 shown]
	global_load_dwordx4 v[110:113], v[92:93], off offset:2976
	global_load_dwordx4 v[114:117], v[94:95], off offset:16
	v_lshlrev_b32_e32 v104, 1, v134
	v_add_u32_e32 v130, 0x1000, v122
	ds_read2_b64 v[124:127], v130 offset0:202 offset1:253
	s_waitcnt vmcnt(7)
	v_mul_f64 v[92:93], v[6:7], v[10:11]
	s_waitcnt vmcnt(6)
	v_mul_f64 v[94:95], v[62:63], v[14:15]
	s_waitcnt lgkmcnt(2)
	v_mul_f64 v[10:11], v[86:87], v[10:11]
	v_mul_f64 v[100:101], v[46:47], v[14:15]
	v_fmac_f64_e32 v[10:11], v[6:7], v[8:9]
	v_fmac_f64_e32 v[100:101], v[62:63], v[12:13]
	s_waitcnt vmcnt(5)
	v_mul_f64 v[14:15], v[4:5], v[26:27]
	s_waitcnt vmcnt(4)
	v_mul_f64 v[102:103], v[58:59], v[30:31]
	v_mul_f64 v[118:119], v[84:85], v[26:27]
	s_waitcnt lgkmcnt(1)
	v_mul_f64 v[128:129], v[98:99], v[30:31]
	v_fma_f64 v[26:27], v[8:9], v[86:87], -v[92:93]
	v_fma_f64 v[30:31], v[12:13], v[46:47], -v[94:95]
	v_fmac_f64_e32 v[118:119], v[4:5], v[24:25]
	v_add_f64 v[4:5], v[26:27], v[30:31]
	v_add_f64 v[8:9], v[10:11], v[100:101]
	v_fma_f64 v[62:63], v[24:25], v[84:85], -v[14:15]
	v_add_f64 v[24:25], v[10:11], -v[100:101]
	v_add_f64 v[6:7], v[72:73], v[26:27]
	v_add_f64 v[12:13], v[20:21], v[10:11]
	v_fma_f64 v[10:11], -0.5, v[4:5], v[72:73]
	v_fma_f64 v[8:9], -0.5, v[8:9], v[20:21]
	v_lshl_add_u64 v[20:21], v[104:105], 4, s[8:9]
	v_add_f64 v[14:15], v[6:7], v[30:31]
	v_fma_f64 v[6:7], s[0:1], v[24:25], v[10:11]
	v_fmac_f64_e32 v[10:11], s[4:5], v[24:25]
	v_add_co_u32_e32 v24, vcc, s12, v20
	v_fma_f64 v[98:99], v[28:29], v[98:99], -v[102:103]
	s_nop 0
	v_addc_co_u32_e32 v25, vcc, 0, v21, vcc
	global_load_dwordx4 v[84:87], v[24:25], off offset:2976
	v_lshl_add_u64 v[20:21], v[20:21], 0, s[10:11]
	global_load_dwordx4 v[92:95], v[20:21], off offset:16
	v_fmac_f64_e32 v[128:129], v[58:59], v[28:29]
	v_add_f64 v[28:29], v[62:63], v[98:99]
	v_add_f64 v[26:27], v[26:27], -v[30:31]
	v_add_f64 v[46:47], v[118:119], -v[128:129]
	v_fma_f64 v[30:31], -0.5, v[28:29], v[60:61]
	v_add_f64 v[20:21], v[60:61], v[62:63]
	v_fma_f64 v[4:5], s[4:5], v[26:27], v[8:9]
	v_fmac_f64_e32 v[8:9], s[0:1], v[26:27]
	v_fma_f64 v[26:27], s[0:1], v[46:47], v[30:31]
	v_fmac_f64_e32 v[30:31], s[4:5], v[46:47]
	v_add_f64 v[46:47], v[20:21], v[98:99]
	v_add_f64 v[20:21], v[118:119], v[128:129]
	v_fma_f64 v[28:29], -0.5, v[20:21], v[44:45]
	v_add_f64 v[20:21], v[62:63], -v[98:99]
	v_fma_f64 v[24:25], s[4:5], v[20:21], v[28:29]
	v_fmac_f64_e32 v[28:29], s[0:1], v[20:21]
	v_add_f64 v[20:21], v[44:45], v[118:119]
	v_add_f64 v[44:45], v[20:21], v[128:129]
	s_waitcnt vmcnt(5)
	v_mul_f64 v[20:21], v[78:79], v[82:83]
	s_waitcnt vmcnt(4)
	v_mul_f64 v[58:59], v[56:57], v[90:91]
	s_waitcnt lgkmcnt(0)
	v_mul_f64 v[82:83], v[126:127], v[82:83]
	v_fma_f64 v[20:21], v[80:81], v[126:127], -v[20:21]
	v_fma_f64 v[72:73], v[88:89], v[96:97], -v[58:59]
	v_fmac_f64_e32 v[82:83], v[78:79], v[80:81]
	v_mul_f64 v[78:79], v[96:97], v[90:91]
	v_add_f64 v[58:59], v[20:21], v[72:73]
	v_fmac_f64_e32 v[78:79], v[56:57], v[88:89]
	v_fma_f64 v[62:63], -0.5, v[58:59], v[66:67]
	v_add_f64 v[56:57], v[82:83], -v[78:79]
	v_fma_f64 v[58:59], s[0:1], v[56:57], v[62:63]
	v_fmac_f64_e32 v[62:63], s[4:5], v[56:57]
	v_add_f64 v[56:57], v[66:67], v[20:21]
	v_add_f64 v[66:67], v[56:57], v[72:73]
	;; [unrolled: 1-line block ×3, first 2 shown]
	v_fma_f64 v[60:61], -0.5, v[56:57], v[64:65]
	v_add_f64 v[20:21], v[20:21], -v[72:73]
	v_fma_f64 v[56:57], s[4:5], v[20:21], v[60:61]
	v_fmac_f64_e32 v[60:61], s[0:1], v[20:21]
	v_add_f64 v[20:21], v[64:65], v[82:83]
	v_lshlrev_b32_e32 v104, 1, v121
	v_add_f64 v[64:65], v[20:21], v[78:79]
	v_lshl_add_u64 v[20:21], v[104:105], 4, s[8:9]
	v_add_co_u32_e32 v72, vcc, s12, v20
	v_add_f64 v[12:13], v[12:13], v[100:101]
	s_nop 0
	v_addc_co_u32_e32 v73, vcc, 0, v21, vcc
	v_lshl_add_u64 v[20:21], v[20:21], 0, s[10:11]
	global_load_dwordx4 v[96:99], v[72:73], off offset:2976
	global_load_dwordx4 v[100:103], v[20:21], off offset:16
	ds_read2_b64 v[88:91], v109 offset0:98 offset1:149
	ds_read2_b64 v[126:129], v122 offset0:204 offset1:255
	s_waitcnt vmcnt(5)
	v_mul_f64 v[20:21], v[76:77], v[112:113]
	s_waitcnt vmcnt(4)
	v_mul_f64 v[72:73], v[70:71], v[116:117]
	v_fma_f64 v[20:21], v[110:111], v[124:125], -v[20:21]
	s_waitcnt lgkmcnt(1)
	v_fma_f64 v[80:81], v[114:115], v[90:91], -v[72:73]
	v_mul_f64 v[124:125], v[124:125], v[112:113]
	v_mul_f64 v[90:91], v[90:91], v[116:117]
	v_add_f64 v[72:73], v[20:21], v[80:81]
	v_fmac_f64_e32 v[124:125], v[76:77], v[110:111]
	v_fmac_f64_e32 v[90:91], v[70:71], v[114:115]
	s_waitcnt lgkmcnt(0)
	v_fma_f64 v[78:79], -0.5, v[72:73], v[128:129]
	v_add_f64 v[70:71], v[124:125], -v[90:91]
	v_lshlrev_b32_e32 v104, 1, v120
	v_fma_f64 v[72:73], s[0:1], v[70:71], v[78:79]
	v_fmac_f64_e32 v[78:79], s[4:5], v[70:71]
	v_lshl_add_u64 v[70:71], v[104:105], 4, s[8:9]
	v_add_co_u32_e32 v76, vcc, s12, v70
	ds_read2_b64 v[118:121], v130 offset0:100 offset1:151
	s_nop 0
	v_addc_co_u32_e32 v77, vcc, 0, v71, vcc
	v_lshl_add_u64 v[70:71], v[70:71], 0, s[10:11]
	global_load_dwordx4 v[110:113], v[76:77], off offset:2976
	global_load_dwordx4 v[114:117], v[70:71], off offset:16
	v_add_f64 v[70:71], v[128:129], v[20:21]
	v_add_f64 v[82:83], v[70:71], v[80:81]
	v_add_f64 v[70:71], v[124:125], v[90:91]
	v_fma_f64 v[76:77], -0.5, v[70:71], v[54:55]
	v_add_f64 v[20:21], v[20:21], -v[80:81]
	v_fma_f64 v[70:71], s[4:5], v[20:21], v[76:77]
	v_fmac_f64_e32 v[76:77], s[0:1], v[20:21]
	v_add_f64 v[20:21], v[54:55], v[124:125]
	v_lshlrev_b32_e32 v104, 1, v123
	v_add_f64 v[80:81], v[20:21], v[90:91]
	v_lshl_add_u64 v[90:91], v[104:105], 4, s[8:9]
	v_add_co_u32_e32 v128, vcc, s12, v90
	s_waitcnt vmcnt(5)
	v_mul_f64 v[20:21], v[50:51], v[86:87]
	v_addc_co_u32_e32 v129, vcc, 0, v91, vcc
	global_load_dwordx4 v[128:131], v[128:129], off offset:2976
	v_lshl_add_u64 v[90:91], v[90:91], 0, s[10:11]
	global_load_dwordx4 v[132:135], v[90:91], off offset:16
	s_waitcnt lgkmcnt(0)
	v_fma_f64 v[20:21], v[84:85], v[120:121], -v[20:21]
	v_mul_f64 v[120:121], v[120:121], v[86:87]
	v_fmac_f64_e32 v[120:121], v[50:51], v[84:85]
	s_waitcnt vmcnt(6)
	v_mul_f64 v[50:51], v[88:89], v[94:95]
	v_mul_f64 v[54:55], v[68:69], v[94:95]
	v_fmac_f64_e32 v[50:51], v[68:69], v[92:93]
	v_fma_f64 v[124:125], v[92:93], v[88:89], -v[54:55]
	v_add_f64 v[68:69], v[120:121], v[50:51]
	v_lshlrev_b32_e32 v104, 1, v184
	v_add_f64 v[54:55], v[20:21], v[124:125]
	v_fma_f64 v[88:89], -0.5, v[68:69], v[52:53]
	v_lshl_add_u64 v[68:69], v[104:105], 4, s[8:9]
	v_fma_f64 v[90:91], -0.5, v[54:55], v[126:127]
	v_add_f64 v[54:55], v[120:121], -v[50:51]
	v_add_co_u32_e32 v84, vcc, s12, v68
	v_fma_f64 v[86:87], s[0:1], v[54:55], v[90:91]
	v_fmac_f64_e32 v[90:91], s[4:5], v[54:55]
	v_add_f64 v[54:55], v[126:127], v[20:21]
	v_addc_co_u32_e32 v85, vcc, 0, v69, vcc
	v_add_f64 v[54:55], v[54:55], v[124:125]
	v_add_f64 v[20:21], v[20:21], -v[124:125]
	global_load_dwordx4 v[124:127], v[84:85], off offset:2976
	v_lshl_add_u64 v[68:69], v[68:69], 0, s[10:11]
	global_load_dwordx4 v[138:141], v[68:69], off offset:16
	v_fma_f64 v[84:85], s[4:5], v[20:21], v[88:89]
	v_fmac_f64_e32 v[88:89], s[0:1], v[20:21]
	v_add_f64 v[20:21], v[52:53], v[120:121]
	v_add_f64 v[52:53], v[20:21], v[50:51]
	v_add_u32_e32 v20, 0x1c00, v122
	ds_read2_b64 v[142:145], v20 offset0:124 offset1:175
	ds_read2_b64 v[146:149], v122 offset0:102 offset1:153
	s_waitcnt vmcnt(7)
	v_mul_f64 v[20:21], v[48:49], v[98:99]
	s_waitcnt vmcnt(6)
	v_mul_f64 v[50:51], v[42:43], v[102:103]
	v_mul_f64 v[104:105], v[118:119], v[98:99]
	v_fma_f64 v[20:21], v[96:97], v[118:119], -v[20:21]
	s_waitcnt lgkmcnt(1)
	v_fma_f64 v[68:69], v[100:101], v[144:145], -v[50:51]
	v_fmac_f64_e32 v[104:105], v[48:49], v[96:97]
	v_mul_f64 v[96:97], v[144:145], v[102:103]
	v_add_f64 v[50:51], v[20:21], v[68:69]
	v_fmac_f64_e32 v[96:97], v[42:43], v[100:101]
	s_waitcnt lgkmcnt(0)
	v_fma_f64 v[94:95], -0.5, v[50:51], v[148:149]
	v_add_f64 v[42:43], v[104:105], -v[96:97]
	v_fma_f64 v[50:51], s[0:1], v[42:43], v[94:95]
	v_fmac_f64_e32 v[94:95], s[4:5], v[42:43]
	v_add_f64 v[42:43], v[148:149], v[20:21]
	v_add_f64 v[98:99], v[42:43], v[68:69]
	;; [unrolled: 1-line block ×3, first 2 shown]
	v_fma_f64 v[92:93], -0.5, v[42:43], v[38:39]
	v_add_u32_e32 v42, 0xc00, v122
	ds_read2_b64 v[100:103], v42 offset0:126 offset1:177
	v_add_f64 v[20:21], v[20:21], -v[68:69]
	v_fma_f64 v[48:49], s[4:5], v[20:21], v[92:93]
	v_fmac_f64_e32 v[92:93], s[0:1], v[20:21]
	v_add_f64 v[20:21], v[38:39], v[104:105]
	v_add_f64 v[96:97], v[20:21], v[96:97]
	s_waitcnt vmcnt(5)
	v_mul_f64 v[20:21], v[34:35], v[112:113]
	s_waitcnt vmcnt(4)
	v_mul_f64 v[38:39], v[40:41], v[116:117]
	s_waitcnt lgkmcnt(0)
	v_mul_f64 v[112:113], v[102:103], v[112:113]
	v_fma_f64 v[20:21], v[110:111], v[102:103], -v[20:21]
	v_fma_f64 v[68:69], v[114:115], v[142:143], -v[38:39]
	v_fmac_f64_e32 v[112:113], v[34:35], v[110:111]
	v_mul_f64 v[34:35], v[142:143], v[116:117]
	v_add_f64 v[38:39], v[20:21], v[68:69]
	v_fmac_f64_e32 v[34:35], v[40:41], v[114:115]
	v_fma_f64 v[42:43], -0.5, v[38:39], v[146:147]
	v_add_f64 v[38:39], v[112:113], -v[34:35]
	v_add_f64 v[40:41], v[112:113], v[34:35]
	v_fma_f64 v[104:105], s[0:1], v[38:39], v[42:43]
	v_fmac_f64_e32 v[42:43], s[4:5], v[38:39]
	v_add_f64 v[38:39], v[146:147], v[20:21]
	v_fma_f64 v[40:41], -0.5, v[40:41], v[36:37]
	v_add_f64 v[20:21], v[20:21], -v[68:69]
	v_fma_f64 v[102:103], s[4:5], v[20:21], v[40:41]
	v_fmac_f64_e32 v[40:41], s[0:1], v[20:21]
	v_add_f64 v[20:21], v[36:37], v[112:113]
	ds_read2_b64 v[108:111], v108 offset0:150 offset1:201
	ds_read2_b64 v[112:115], v122 offset1:51
	v_add_f64 v[36:37], v[20:21], v[34:35]
	s_waitcnt vmcnt(3)
	v_mul_f64 v[20:21], v[32:33], v[130:131]
	v_add_f64 v[38:39], v[38:39], v[68:69]
	v_fma_f64 v[68:69], v[128:129], v[100:101], -v[20:21]
	s_waitcnt vmcnt(2)
	v_mul_f64 v[20:21], v[18:19], v[134:135]
	s_waitcnt lgkmcnt(1)
	v_fma_f64 v[118:119], v[132:133], v[110:111], -v[20:21]
	v_mul_f64 v[100:101], v[100:101], v[130:131]
	v_mul_f64 v[110:111], v[110:111], v[134:135]
	v_add_f64 v[20:21], v[68:69], v[118:119]
	v_fmac_f64_e32 v[100:101], v[32:33], v[128:129]
	v_fmac_f64_e32 v[110:111], v[18:19], v[132:133]
	s_waitcnt lgkmcnt(0)
	v_fma_f64 v[20:21], -0.5, v[20:21], v[114:115]
	v_add_f64 v[18:19], v[100:101], -v[110:111]
	v_fma_f64 v[34:35], s[0:1], v[18:19], v[20:21]
	v_fmac_f64_e32 v[20:21], s[4:5], v[18:19]
	v_add_f64 v[18:19], v[114:115], v[68:69]
	v_add_f64 v[116:117], v[18:19], v[118:119]
	v_add_f64 v[18:19], v[100:101], v[110:111]
	v_fma_f64 v[18:19], -0.5, v[18:19], v[2:3]
	v_add_f64 v[2:3], v[2:3], v[100:101]
	v_add_f64 v[68:69], v[68:69], -v[118:119]
	v_add_f64 v[114:115], v[2:3], v[110:111]
	v_fma_f64 v[32:33], s[4:5], v[68:69], v[18:19]
	s_waitcnt vmcnt(1)
	v_mul_f64 v[2:3], v[22:23], v[126:127]
	v_fmac_f64_e32 v[18:19], s[0:1], v[68:69]
	v_fma_f64 v[2:3], v[124:125], v[74:75], -v[2:3]
	s_waitcnt vmcnt(0)
	v_mul_f64 v[68:69], v[16:17], v[140:141]
	v_mul_f64 v[74:75], v[74:75], v[126:127]
	v_fma_f64 v[68:69], v[138:139], v[108:109], -v[68:69]
	v_fmac_f64_e32 v[74:75], v[22:23], v[124:125]
	v_mul_f64 v[22:23], v[108:109], v[140:141]
	v_add_f64 v[100:101], v[2:3], v[68:69]
	v_fmac_f64_e32 v[22:23], v[16:17], v[138:139]
	v_fma_f64 v[110:111], -0.5, v[100:101], v[112:113]
	v_add_f64 v[16:17], v[74:75], -v[22:23]
	v_fma_f64 v[120:121], s[0:1], v[16:17], v[110:111]
	v_fmac_f64_e32 v[110:111], s[4:5], v[16:17]
	v_add_f64 v[16:17], v[112:113], v[2:3]
	v_add_f64 v[124:125], v[16:17], v[68:69]
	;; [unrolled: 1-line block ×3, first 2 shown]
	v_fma_f64 v[108:109], -0.5, v[16:17], v[0:1]
	v_add_f64 v[2:3], v[2:3], -v[68:69]
	v_fma_f64 v[118:119], s[4:5], v[2:3], v[108:109]
	v_fmac_f64_e32 v[108:109], s[0:1], v[2:3]
	v_add_f64 v[0:1], v[0:1], v[74:75]
	s_mov_b32 s0, 0x4763d59d
	v_add_f64 v[122:123], v[0:1], v[22:23]
	v_mul_hi_u32 v0, v184, s0
	v_lshrrev_b32_e32 v0, 7, v0
	v_mul_u32_u24_e32 v0, 0x1cb, v0
	v_sub_u32_e32 v22, v184, v0
	v_mad_u64_u32 v[2:3], s[2:3], s16, v22, 0
	v_mov_b32_e32 v0, v3
	v_mad_u64_u32 v[0:1], s[2:3], s17, v22, v[0:1]
	v_mov_b32_e32 v3, v0
	v_lshl_add_u64 v[0:1], v[106:107], 4, s[6:7]
	v_lshl_add_u64 v[0:1], v[136:137], 4, v[0:1]
	;; [unrolled: 1-line block ×3, first 2 shown]
	v_add_u32_e32 v17, 0x1cb, v22
	global_store_dwordx4 v[2:3], v[122:125], off
	v_mad_u64_u32 v[2:3], s[2:3], s16, v17, 0
	v_mov_b32_e32 v16, v3
	v_mad_u64_u32 v[16:17], s[2:3], s17, v17, v[16:17]
	v_mov_b32_e32 v3, v16
	v_lshl_add_u64 v[2:3], v[2:3], 4, v[0:1]
	v_add_u32_e32 v17, 0x396, v22
	global_store_dwordx4 v[2:3], v[108:111], off
	v_mad_u64_u32 v[2:3], s[2:3], s16, v17, 0
	v_mov_b32_e32 v16, v3
	v_mad_u64_u32 v[16:17], s[2:3], s17, v17, v[16:17]
	v_mov_b32_e32 v3, v16
	v_lshl_add_u64 v[2:3], v[2:3], 4, v[0:1]
	global_store_dwordx4 v[2:3], v[118:121], off
	v_add_u32_e32 v2, 51, v184
	v_mul_hi_u32 v3, v2, s0
	v_lshrrev_b32_e32 v3, 7, v3
	v_mul_u32_u24_e32 v16, 0x1cb, v3
	v_sub_u32_e32 v2, v2, v16
	s_movk_i32 s1, 0x561
	v_mad_u32_u24 v22, v3, s1, v2
	v_mad_u64_u32 v[2:3], s[2:3], s16, v22, 0
	v_mov_b32_e32 v16, v3
	v_mad_u64_u32 v[16:17], s[2:3], s17, v22, v[16:17]
	v_mov_b32_e32 v3, v16
	v_lshl_add_u64 v[2:3], v[2:3], 4, v[0:1]
	v_add_u32_e32 v17, 0x1cb, v22
	global_store_dwordx4 v[2:3], v[114:117], off
	v_mad_u64_u32 v[2:3], s[2:3], s16, v17, 0
	v_mov_b32_e32 v16, v3
	v_mad_u64_u32 v[16:17], s[2:3], s17, v17, v[16:17]
	v_mov_b32_e32 v3, v16
	v_lshl_add_u64 v[2:3], v[2:3], 4, v[0:1]
	v_add_u32_e32 v17, 0x396, v22
	global_store_dwordx4 v[2:3], v[18:21], off
	v_mad_u64_u32 v[2:3], s[2:3], s16, v17, 0
	v_mov_b32_e32 v16, v3
	v_mad_u64_u32 v[16:17], s[2:3], s17, v17, v[16:17]
	v_mov_b32_e32 v3, v16
	v_lshl_add_u64 v[2:3], v[2:3], 4, v[0:1]
	global_store_dwordx4 v[2:3], v[32:35], off
	v_add_u32_e32 v2, 0x66, v184
	v_mul_hi_u32 v3, v2, s0
	v_lshrrev_b32_e32 v3, 7, v3
	v_mul_u32_u24_e32 v16, 0x1cb, v3
	v_sub_u32_e32 v2, v2, v16
	v_mad_u32_u24 v18, v3, s1, v2
	v_mad_u64_u32 v[2:3], s[2:3], s16, v18, 0
	v_mov_b32_e32 v16, v3
	v_mad_u64_u32 v[16:17], s[2:3], s17, v18, v[16:17]
	v_mov_b32_e32 v3, v16
	v_lshl_add_u64 v[2:3], v[2:3], 4, v[0:1]
	v_add_u32_e32 v17, 0x1cb, v18
	global_store_dwordx4 v[2:3], v[36:39], off
	v_mad_u64_u32 v[2:3], s[2:3], s16, v17, 0
	v_mov_b32_e32 v16, v3
	v_mad_u64_u32 v[16:17], s[2:3], s17, v17, v[16:17]
	v_mov_b32_e32 v3, v16
	v_lshl_add_u64 v[2:3], v[2:3], 4, v[0:1]
	v_add_u32_e32 v17, 0x396, v18
	global_store_dwordx4 v[2:3], v[40:43], off
	v_mad_u64_u32 v[2:3], s[2:3], s16, v17, 0
	v_mov_b32_e32 v16, v3
	v_mad_u64_u32 v[16:17], s[2:3], s17, v17, v[16:17]
	v_mov_b32_e32 v3, v16
	v_lshl_add_u64 v[2:3], v[2:3], 4, v[0:1]
	global_store_dwordx4 v[2:3], v[102:105], off
	v_add_u32_e32 v2, 0x99, v184
	v_mul_hi_u32 v3, v2, s0
	v_lshrrev_b32_e32 v3, 7, v3
	v_mul_u32_u24_e32 v16, 0x1cb, v3
	v_sub_u32_e32 v2, v2, v16
	;; [unrolled: 26-line block ×7, first 2 shown]
	v_mad_u32_u24 v18, v3, s1, v2
	v_mad_u64_u32 v[2:3], s[0:1], s16, v18, 0
	v_mov_b32_e32 v16, v3
	v_mad_u64_u32 v[16:17], s[0:1], s17, v18, v[16:17]
	v_mov_b32_e32 v3, v16
	v_lshl_add_u64 v[2:3], v[2:3], 4, v[0:1]
	global_store_dwordx4 v[2:3], v[12:15], off
	s_nop 1
	v_add_u32_e32 v13, 0x1cb, v18
	v_mad_u64_u32 v[2:3], s[0:1], s16, v13, 0
	v_mov_b32_e32 v12, v3
	v_mad_u64_u32 v[12:13], s[0:1], s17, v13, v[12:13]
	v_mov_b32_e32 v3, v12
	v_lshl_add_u64 v[2:3], v[2:3], 4, v[0:1]
	global_store_dwordx4 v[2:3], v[8:11], off
	s_nop 1
	v_add_u32_e32 v9, 0x396, v18
	v_mad_u64_u32 v[2:3], s[0:1], s16, v9, 0
	v_mov_b32_e32 v8, v3
	v_mad_u64_u32 v[8:9], s[0:1], s17, v9, v[8:9]
	v_mov_b32_e32 v3, v8
	v_lshl_add_u64 v[0:1], v[2:3], 4, v[0:1]
	global_store_dwordx4 v[0:1], v[4:7], off
.LBB0_21:
	s_endpgm
	.section	.rodata,"a",@progbits
	.p2align	6, 0x0
	.amdhsa_kernel fft_rtc_back_len1377_factors_17_3_9_3_wgs_51_tpt_51_halfLds_dp_op_CI_CI_sbrr_dirReg
		.amdhsa_group_segment_fixed_size 0
		.amdhsa_private_segment_fixed_size 0
		.amdhsa_kernarg_size 104
		.amdhsa_user_sgpr_count 2
		.amdhsa_user_sgpr_dispatch_ptr 0
		.amdhsa_user_sgpr_queue_ptr 0
		.amdhsa_user_sgpr_kernarg_segment_ptr 1
		.amdhsa_user_sgpr_dispatch_id 0
		.amdhsa_user_sgpr_kernarg_preload_length 0
		.amdhsa_user_sgpr_kernarg_preload_offset 0
		.amdhsa_user_sgpr_private_segment_size 0
		.amdhsa_uses_dynamic_stack 0
		.amdhsa_enable_private_segment 0
		.amdhsa_system_sgpr_workgroup_id_x 1
		.amdhsa_system_sgpr_workgroup_id_y 0
		.amdhsa_system_sgpr_workgroup_id_z 0
		.amdhsa_system_sgpr_workgroup_info 0
		.amdhsa_system_vgpr_workitem_id 0
		.amdhsa_next_free_vgpr 228
		.amdhsa_next_free_sgpr 62
		.amdhsa_accum_offset 228
		.amdhsa_reserve_vcc 1
		.amdhsa_float_round_mode_32 0
		.amdhsa_float_round_mode_16_64 0
		.amdhsa_float_denorm_mode_32 3
		.amdhsa_float_denorm_mode_16_64 3
		.amdhsa_dx10_clamp 1
		.amdhsa_ieee_mode 1
		.amdhsa_fp16_overflow 0
		.amdhsa_tg_split 0
		.amdhsa_exception_fp_ieee_invalid_op 0
		.amdhsa_exception_fp_denorm_src 0
		.amdhsa_exception_fp_ieee_div_zero 0
		.amdhsa_exception_fp_ieee_overflow 0
		.amdhsa_exception_fp_ieee_underflow 0
		.amdhsa_exception_fp_ieee_inexact 0
		.amdhsa_exception_int_div_zero 0
	.end_amdhsa_kernel
	.text
.Lfunc_end0:
	.size	fft_rtc_back_len1377_factors_17_3_9_3_wgs_51_tpt_51_halfLds_dp_op_CI_CI_sbrr_dirReg, .Lfunc_end0-fft_rtc_back_len1377_factors_17_3_9_3_wgs_51_tpt_51_halfLds_dp_op_CI_CI_sbrr_dirReg
                                        ; -- End function
	.section	.AMDGPU.csdata,"",@progbits
; Kernel info:
; codeLenInByte = 24680
; NumSgprs: 68
; NumVgprs: 228
; NumAgprs: 0
; TotalNumVgprs: 228
; ScratchSize: 0
; MemoryBound: 1
; FloatMode: 240
; IeeeMode: 1
; LDSByteSize: 0 bytes/workgroup (compile time only)
; SGPRBlocks: 8
; VGPRBlocks: 28
; NumSGPRsForWavesPerEU: 68
; NumVGPRsForWavesPerEU: 228
; AccumOffset: 228
; Occupancy: 2
; WaveLimiterHint : 1
; COMPUTE_PGM_RSRC2:SCRATCH_EN: 0
; COMPUTE_PGM_RSRC2:USER_SGPR: 2
; COMPUTE_PGM_RSRC2:TRAP_HANDLER: 0
; COMPUTE_PGM_RSRC2:TGID_X_EN: 1
; COMPUTE_PGM_RSRC2:TGID_Y_EN: 0
; COMPUTE_PGM_RSRC2:TGID_Z_EN: 0
; COMPUTE_PGM_RSRC2:TIDIG_COMP_CNT: 0
; COMPUTE_PGM_RSRC3_GFX90A:ACCUM_OFFSET: 56
; COMPUTE_PGM_RSRC3_GFX90A:TG_SPLIT: 0
	.text
	.p2alignl 6, 3212836864
	.fill 256, 4, 3212836864
	.type	__hip_cuid_5b9746e1e5a5e2f7,@object ; @__hip_cuid_5b9746e1e5a5e2f7
	.section	.bss,"aw",@nobits
	.globl	__hip_cuid_5b9746e1e5a5e2f7
__hip_cuid_5b9746e1e5a5e2f7:
	.byte	0                               ; 0x0
	.size	__hip_cuid_5b9746e1e5a5e2f7, 1

	.ident	"AMD clang version 19.0.0git (https://github.com/RadeonOpenCompute/llvm-project roc-6.4.0 25133 c7fe45cf4b819c5991fe208aaa96edf142730f1d)"
	.section	".note.GNU-stack","",@progbits
	.addrsig
	.addrsig_sym __hip_cuid_5b9746e1e5a5e2f7
	.amdgpu_metadata
---
amdhsa.kernels:
  - .agpr_count:     0
    .args:
      - .actual_access:  read_only
        .address_space:  global
        .offset:         0
        .size:           8
        .value_kind:     global_buffer
      - .offset:         8
        .size:           8
        .value_kind:     by_value
      - .actual_access:  read_only
        .address_space:  global
        .offset:         16
        .size:           8
        .value_kind:     global_buffer
      - .actual_access:  read_only
        .address_space:  global
        .offset:         24
        .size:           8
        .value_kind:     global_buffer
      - .actual_access:  read_only
        .address_space:  global
        .offset:         32
        .size:           8
        .value_kind:     global_buffer
      - .offset:         40
        .size:           8
        .value_kind:     by_value
      - .actual_access:  read_only
        .address_space:  global
        .offset:         48
        .size:           8
        .value_kind:     global_buffer
      - .actual_access:  read_only
        .address_space:  global
        .offset:         56
        .size:           8
        .value_kind:     global_buffer
      - .offset:         64
        .size:           4
        .value_kind:     by_value
      - .actual_access:  read_only
        .address_space:  global
        .offset:         72
        .size:           8
        .value_kind:     global_buffer
      - .actual_access:  read_only
        .address_space:  global
        .offset:         80
        .size:           8
        .value_kind:     global_buffer
      - .actual_access:  read_only
        .address_space:  global
        .offset:         88
        .size:           8
        .value_kind:     global_buffer
      - .actual_access:  write_only
        .address_space:  global
        .offset:         96
        .size:           8
        .value_kind:     global_buffer
    .group_segment_fixed_size: 0
    .kernarg_segment_align: 8
    .kernarg_segment_size: 104
    .language:       OpenCL C
    .language_version:
      - 2
      - 0
    .max_flat_workgroup_size: 51
    .name:           fft_rtc_back_len1377_factors_17_3_9_3_wgs_51_tpt_51_halfLds_dp_op_CI_CI_sbrr_dirReg
    .private_segment_fixed_size: 0
    .sgpr_count:     68
    .sgpr_spill_count: 0
    .symbol:         fft_rtc_back_len1377_factors_17_3_9_3_wgs_51_tpt_51_halfLds_dp_op_CI_CI_sbrr_dirReg.kd
    .uniform_work_group_size: 1
    .uses_dynamic_stack: false
    .vgpr_count:     228
    .vgpr_spill_count: 0
    .wavefront_size: 64
amdhsa.target:   amdgcn-amd-amdhsa--gfx950
amdhsa.version:
  - 1
  - 2
...

	.end_amdgpu_metadata
